;; amdgpu-corpus repo=ROCm/rocFFT kind=compiled arch=gfx950 opt=O3
	.text
	.amdgcn_target "amdgcn-amd-amdhsa--gfx950"
	.amdhsa_code_object_version 6
	.protected	bluestein_single_fwd_len1360_dim1_sp_op_CI_CI ; -- Begin function bluestein_single_fwd_len1360_dim1_sp_op_CI_CI
	.globl	bluestein_single_fwd_len1360_dim1_sp_op_CI_CI
	.p2align	8
	.type	bluestein_single_fwd_len1360_dim1_sp_op_CI_CI,@function
bluestein_single_fwd_len1360_dim1_sp_op_CI_CI: ; @bluestein_single_fwd_len1360_dim1_sp_op_CI_CI
; %bb.0:
	s_load_dwordx4 s[8:11], s[0:1], 0x28
	v_mul_u32_u24_e32 v1, 0x304, v0
	v_lshrrev_b32_e32 v2, 16, v1
	v_mad_u64_u32 v[234:235], s[2:3], s2, 3, v[2:3]
	v_mov_b32_e32 v235, 0
	s_waitcnt lgkmcnt(0)
	v_cmp_gt_u64_e32 vcc, s[8:9], v[234:235]
	s_and_saveexec_b64 s[2:3], vcc
	s_cbranch_execz .LBB0_23
; %bb.1:
	v_mul_lo_u16_e32 v1, 0x55, v2
	s_mov_b32 s2, 0xaaaaaaab
	v_sub_u16_e32 v230, v0, v1
	v_mul_hi_u32 v0, v234, s2
	s_load_dwordx2 s[8:9], s[0:1], 0x0
	s_load_dwordx2 s[12:13], s[0:1], 0x38
	v_lshrrev_b32_e32 v0, 1, v0
	v_lshl_add_u32 v0, v0, 1, v0
	v_sub_u32_e32 v0, v234, v0
	v_mul_u32_u24_e32 v140, 0x550, v0
	s_movk_i32 s2, 0x50
	v_cmp_gt_u16_e32 vcc, s2, v230
	v_lshlrev_b32_e32 v232, 3, v230
	v_lshlrev_b32_e32 v227, 3, v140
	s_and_saveexec_b64 s[14:15], vcc
	s_cbranch_execz .LBB0_3
; %bb.2:
	s_load_dwordx2 s[2:3], s[0:1], 0x18
	v_mov_b32_e32 v0, s10
	v_mov_b32_e32 v1, s11
	;; [unrolled: 1-line block ×3, first 2 shown]
	v_or_b32_e32 v39, 0x280, v230
	s_waitcnt lgkmcnt(0)
	s_load_dwordx4 s[4:7], s[2:3], 0x0
	v_or_b32_e32 v74, 0x500, v230
	v_lshl_add_u64 v[20:21], s[8:9], 0, v[232:233]
	v_lshlrev_b32_e32 v36, 3, v39
	v_lshlrev_b32_e32 v37, 3, v74
	s_waitcnt lgkmcnt(0)
	v_mad_u64_u32 v[2:3], s[2:3], s6, v234, 0
	v_mad_u64_u32 v[4:5], s[2:3], s4, v230, 0
	v_mov_b32_e32 v6, v3
	v_mov_b32_e32 v8, v5
	v_mad_u64_u32 v[6:7], s[2:3], s7, v234, v[6:7]
	v_mov_b32_e32 v3, v6
	v_mad_u64_u32 v[6:7], s[2:3], s5, v230, v[8:9]
	v_mov_b32_e32 v5, v6
	v_lshl_add_u64 v[2:3], v[2:3], 3, v[0:1]
	s_movk_i32 s2, 0x1000
	v_lshl_add_u64 v[18:19], v[4:5], 3, v[2:3]
	v_add_co_u32_e64 v22, s[2:3], s2, v20
	global_load_dwordx2 v[0:1], v[18:19], off
	global_load_dwordx2 v[4:5], v232, s[8:9]
	global_load_dwordx2 v[6:7], v232, s[8:9] offset:640
	global_load_dwordx2 v[8:9], v232, s[8:9] offset:1280
	;; [unrolled: 1-line block ×6, first 2 shown]
	v_addc_co_u32_e64 v23, s[2:3], 0, v21, s[2:3]
	global_load_dwordx2 v[24:25], v36, s[8:9]
	global_load_dwordx2 v[26:27], v37, s[8:9]
	global_load_dwordx2 v[28:29], v[22:23], off offset:384
	global_load_dwordx2 v[30:31], v[22:23], off offset:1664
	;; [unrolled: 1-line block ×4, first 2 shown]
	v_mad_u64_u32 v[36:37], s[2:3], s4, v39, 0
	v_mov_b32_e32 v38, v37
	v_mov_b32_e32 v59, 0x280
	v_mad_u64_u32 v[38:39], s[2:3], s5, v39, v[38:39]
	s_mul_i32 s6, s5, 0x280
	v_mad_u64_u32 v[18:19], s[2:3], s4, v59, v[18:19]
	v_mov_b32_e32 v37, v38
	v_add_u32_e32 v19, s6, v19
	v_lshl_add_u64 v[36:37], v[36:37], 3, v[2:3]
	global_load_dwordx2 v[40:41], v[18:19], off
	v_mov_b32_e32 v52, 0x500
	global_load_dwordx2 v[36:37], v[36:37], off
	v_mad_u64_u32 v[18:19], s[2:3], s4, v59, v[18:19]
	v_add_u32_e32 v19, s6, v19
	global_load_dwordx2 v[42:43], v[18:19], off
	v_mad_u64_u32 v[18:19], s[2:3], s4, v59, v[18:19]
	v_add_u32_e32 v19, s6, v19
	global_load_dwordx2 v[38:39], v[18:19], off
	v_mad_u64_u32 v[18:19], s[2:3], s4, v59, v[18:19]
	v_add_u32_e32 v19, s6, v19
	global_load_dwordx2 v[44:45], v[18:19], off
	v_mad_u64_u32 v[18:19], s[2:3], s4, v59, v[18:19]
	v_add_u32_e32 v19, s6, v19
	global_load_dwordx2 v[46:47], v[18:19], off
	v_mad_u64_u32 v[18:19], s[2:3], s4, v59, v[18:19]
	v_add_u32_e32 v19, s6, v19
	global_load_dwordx2 v[48:49], v[18:19], off
	v_mad_u64_u32 v[18:19], s[2:3], s4, v59, v[18:19]
	v_add_u32_e32 v19, s6, v19
	s_mul_i32 s7, s5, 0x500
	global_load_dwordx2 v[50:51], v[18:19], off
	v_mad_u64_u32 v[18:19], s[2:3], s4, v52, v[18:19]
	v_add_u32_e32 v19, s7, v19
	global_load_dwordx2 v[52:53], v[18:19], off
	v_mad_u64_u32 v[18:19], s[2:3], s4, v59, v[18:19]
	v_add_u32_e32 v19, s6, v19
	;; [unrolled: 3-line block ×4, first 2 shown]
	global_load_dwordx2 v[60:61], v[18:19], off
	global_load_dwordx2 v[62:63], v[22:23], off offset:3584
	v_mad_u64_u32 v[18:19], s[2:3], s4, v59, v[18:19]
	s_movk_i32 s2, 0x2000
	v_add_u32_e32 v19, s6, v19
	v_add_co_u32_e64 v20, s[2:3], s2, v20
	global_load_dwordx2 v[22:23], v[18:19], off
	s_nop 0
	v_addc_co_u32_e64 v21, s[2:3], 0, v21, s[2:3]
	v_mad_u64_u32 v[18:19], s[2:3], s4, v59, v[18:19]
	v_add_u32_e32 v19, s6, v19
	global_load_dwordx2 v[64:65], v[18:19], off
	global_load_dwordx2 v[66:67], v[20:21], off offset:128
	v_mad_u64_u32 v[18:19], s[2:3], s4, v59, v[18:19]
	v_add_u32_e32 v19, s6, v19
	global_load_dwordx2 v[68:69], v[20:21], off offset:768
	global_load_dwordx2 v[70:71], v[18:19], off
	global_load_dwordx2 v[72:73], v[20:21], off offset:1408
	v_mad_u64_u32 v[18:19], s[2:3], s4, v74, 0
	v_mov_b32_e32 v20, v19
	v_mad_u64_u32 v[20:21], s[2:3], s5, v74, v[20:21]
	v_mov_b32_e32 v19, v20
	v_lshl_add_u64 v[2:3], v[18:19], 3, v[2:3]
	global_load_dwordx2 v[2:3], v[2:3], off
	s_waitcnt vmcnt(32)
	v_mul_f32_e32 v58, v1, v5
	v_fmac_f32_e32 v58, v0, v4
	v_mul_f32_e32 v0, v0, v5
	v_lshl_add_u32 v18, v230, 3, v227
	v_fma_f32 v59, v1, v4, -v0
	ds_write_b64 v18, v[58:59]
	v_add_u32_e32 v18, v227, v232
	s_waitcnt vmcnt(19)
	v_mul_f32_e32 v0, v41, v7
	v_mul_f32_e32 v1, v40, v7
	v_fmac_f32_e32 v0, v40, v6
	v_fma_f32 v1, v41, v6, -v1
	v_add_u32_e32 v6, 0x400, v18
	s_waitcnt vmcnt(17)
	v_mul_f32_e32 v4, v43, v9
	v_mul_f32_e32 v5, v42, v9
	v_fmac_f32_e32 v4, v42, v8
	v_fma_f32 v5, v43, v8, -v5
	ds_write2_b64 v18, v[0:1], v[4:5] offset0:80 offset1:160
	s_waitcnt vmcnt(16)
	v_mul_f32_e32 v0, v39, v11
	v_mul_f32_e32 v1, v38, v11
	v_fmac_f32_e32 v0, v38, v10
	s_waitcnt vmcnt(15)
	v_mul_f32_e32 v4, v45, v13
	v_mul_f32_e32 v5, v44, v13
	v_fma_f32 v1, v39, v10, -v1
	v_fmac_f32_e32 v4, v44, v12
	v_fma_f32 v5, v45, v12, -v5
	ds_write2_b64 v6, v[0:1], v[4:5] offset0:112 offset1:192
	s_waitcnt vmcnt(14)
	v_mul_f32_e32 v0, v47, v15
	v_mul_f32_e32 v1, v46, v15
	s_waitcnt vmcnt(13)
	v_mul_f32_e32 v4, v49, v17
	v_mul_f32_e32 v5, v48, v17
	v_fmac_f32_e32 v0, v46, v14
	v_fma_f32 v1, v47, v14, -v1
	v_fmac_f32_e32 v4, v48, v16
	v_fma_f32 v5, v49, v16, -v5
	v_add_u32_e32 v6, 0x800, v18
	ds_write2_b64 v6, v[0:1], v[4:5] offset0:144 offset1:224
	s_waitcnt vmcnt(12)
	v_mul_f32_e32 v0, v51, v29
	v_mul_f32_e32 v1, v50, v29
	;; [unrolled: 1-line block ×4, first 2 shown]
	v_fmac_f32_e32 v0, v50, v28
	v_fma_f32 v1, v51, v28, -v1
	v_fmac_f32_e32 v4, v36, v24
	v_fma_f32 v5, v37, v24, -v5
	v_add_u32_e32 v6, 0x1000, v18
	ds_write2_b64 v6, v[0:1], v[4:5] offset0:48 offset1:128
	s_waitcnt vmcnt(11)
	v_mul_f32_e32 v0, v53, v31
	v_mul_f32_e32 v1, v52, v31
	s_waitcnt vmcnt(10)
	v_mul_f32_e32 v4, v55, v33
	v_mul_f32_e32 v5, v54, v33
	v_fmac_f32_e32 v0, v52, v30
	v_fma_f32 v1, v53, v30, -v1
	v_fmac_f32_e32 v4, v54, v32
	v_fma_f32 v5, v55, v32, -v5
	v_add_u32_e32 v6, 0x1400, v18
	ds_write2_b64 v6, v[0:1], v[4:5] offset0:80 offset1:160
	s_waitcnt vmcnt(9)
	v_mul_f32_e32 v0, v57, v35
	v_mul_f32_e32 v1, v56, v35
	s_waitcnt vmcnt(7)
	v_mul_f32_e32 v4, v61, v63
	v_mul_f32_e32 v5, v60, v63
	v_fmac_f32_e32 v0, v56, v34
	v_fma_f32 v1, v57, v34, -v1
	v_fmac_f32_e32 v4, v60, v62
	v_fma_f32 v5, v61, v62, -v5
	v_add_u32_e32 v6, 0x1800, v18
	ds_write2_b64 v6, v[0:1], v[4:5] offset0:112 offset1:192
	s_waitcnt vmcnt(4)
	v_mul_f32_e32 v0, v23, v67
	v_mul_f32_e32 v1, v22, v67
	s_waitcnt vmcnt(3)
	v_mul_f32_e32 v4, v65, v69
	v_mul_f32_e32 v5, v64, v69
	v_fmac_f32_e32 v0, v22, v66
	v_fma_f32 v1, v23, v66, -v1
	v_fmac_f32_e32 v4, v64, v68
	v_fma_f32 v5, v65, v68, -v5
	v_add_u32_e32 v6, 0x2000, v18
	ds_write2_b64 v6, v[0:1], v[4:5] offset0:16 offset1:96
	s_waitcnt vmcnt(0)
	v_mul_f32_e32 v4, v3, v27
	v_mul_f32_e32 v0, v71, v73
	;; [unrolled: 1-line block ×3, first 2 shown]
	v_fmac_f32_e32 v4, v2, v26
	v_mul_f32_e32 v2, v2, v27
	v_fmac_f32_e32 v0, v70, v72
	v_fma_f32 v1, v71, v72, -v1
	v_fma_f32 v5, v3, v26, -v2
	v_add_u32_e32 v2, 0x2400, v18
	ds_write2_b64 v2, v[0:1], v[4:5] offset0:48 offset1:128
.LBB0_3:
	s_or_b64 exec, exec, s[14:15]
	v_mov_b64_e32 v[0:1], 0
	s_waitcnt lgkmcnt(0)
	s_barrier
	s_waitcnt lgkmcnt(0)
                                        ; implicit-def: $vgpr6
                                        ; implicit-def: $vgpr12
                                        ; implicit-def: $vgpr10
                                        ; implicit-def: $vgpr16
                                        ; implicit-def: $vgpr30
                                        ; implicit-def: $vgpr24
                                        ; implicit-def: $vgpr22
                                        ; implicit-def: $vgpr68
	s_and_saveexec_b64 s[2:3], vcc
	s_cbranch_execz .LBB0_5
; %bb.4:
	v_lshl_add_u32 v32, v140, 3, v232
	v_add_u32_e32 v4, 0xc00, v32
	v_add_u32_e32 v16, 0x800, v32
	ds_read2_b64 v[0:3], v32 offset1:80
	ds_read2_b64 v[20:23], v32 offset0:160 offset1:240
	ds_read2_b64 v[8:11], v4 offset0:96 offset1:176
	v_add_u32_e32 v4, 0x1000, v32
	v_add_u32_e32 v12, 0x1800, v32
	ds_read2_b64 v[28:31], v16 offset0:64 offset1:144
	v_add_u32_e32 v16, 0x1c00, v32
	v_add_u32_e32 v24, 0x2000, v32
	ds_read2_b64 v[4:7], v4 offset0:128 offset1:208
	ds_read2_b64 v[12:15], v12 offset0:32 offset1:112
	;; [unrolled: 1-line block ×4, first 2 shown]
	ds_read_b64 v[68:69], v32 offset:10240
.LBB0_5:
	s_or_b64 exec, exec, s[2:3]
	s_waitcnt lgkmcnt(0)
	v_pk_add_f32 v[52:53], v[2:3], v[68:69] neg_lo:[0,1] neg_hi:[0,1]
	s_mov_b32 s36, 0xbf2c7751
	s_mov_b32 s28, 0xbeb8f4ab
	v_pk_add_f32 v[42:43], v[68:69], v[2:3]
	v_pk_add_f32 v[46:47], v[20:21], v[26:27] neg_lo:[0,1] neg_hi:[0,1]
	s_mov_b32 s10, 0x3f3d2fb0
	v_pk_mul_f32 v[54:55], v[52:53], s[36:37] op_sel_hi:[1,0]
	s_mov_b32 s26, 0xbf7ee86f
	s_mov_b32 s20, 0x3f6eb680
	v_pk_mul_f32 v[58:59], v[52:53], s[28:29] op_sel_hi:[1,0]
	v_pk_add_f32 v[40:41], v[26:27], v[20:21]
	s_mov_b32 s6, 0x3dbcf732
	v_pk_mul_f32 v[56:57], v[46:47], s[26:27] op_sel_hi:[1,0]
	v_pk_fma_f32 v[74:75], v[42:43], s[20:21], v[58:59] op_sel:[0,0,1] op_sel_hi:[1,0,0]
	v_pk_fma_f32 v[76:77], v[42:43], s[20:21], v[58:59] op_sel:[0,0,1] op_sel_hi:[1,0,0] neg_lo:[0,0,1] neg_hi:[0,0,1]
	v_pk_mul_f32 v[60:61], v[46:47], s[36:37] op_sel_hi:[1,0]
	v_pk_fma_f32 v[90:91], v[42:43], s[10:11], v[54:55] op_sel:[0,0,1] op_sel_hi:[1,0,0]
	v_pk_fma_f32 v[70:71], v[42:43], s[10:11], v[54:55] op_sel:[0,0,1] op_sel_hi:[1,0,0] neg_lo:[0,0,1] neg_hi:[0,0,1]
	v_mov_b32_e32 v58, v74
	v_mov_b32_e32 v59, v77
	v_pk_fma_f32 v[78:79], v[40:41], s[10:11], v[60:61] op_sel:[0,0,1] op_sel_hi:[1,0,0]
	v_pk_fma_f32 v[80:81], v[40:41], s[10:11], v[60:61] op_sel:[0,0,1] op_sel_hi:[1,0,0] neg_lo:[0,0,1] neg_hi:[0,0,1]
	v_mov_b32_e32 v54, v90
	v_mov_b32_e32 v55, v71
	v_pk_fma_f32 v[102:103], v[40:41], s[6:7], v[56:57] op_sel:[0,0,1] op_sel_hi:[1,0,0]
	v_pk_fma_f32 v[72:73], v[40:41], s[6:7], v[56:57] op_sel:[0,0,1] op_sel_hi:[1,0,0] neg_lo:[0,0,1] neg_hi:[0,0,1]
	v_pk_add_f32 v[38:39], v[22:23], v[24:25] neg_lo:[0,1] neg_hi:[0,1]
	v_pk_add_f32 v[58:59], v[58:59], v[0:1]
	v_mov_b32_e32 v60, v78
	v_mov_b32_e32 v61, v81
	;; [unrolled: 1-line block ×4, first 2 shown]
	v_pk_add_f32 v[54:55], v[54:55], v[0:1]
	s_mov_b32 s46, 0xbf65296c
	v_pk_add_f32 v[36:37], v[24:25], v[22:23]
	v_pk_add_f32 v[34:35], v[28:29], v[18:19] neg_lo:[0,1] neg_hi:[0,1]
	v_pk_add_f32 v[58:59], v[60:61], v[58:59]
	v_pk_add_f32 v[60:61], v[56:57], v[54:55]
	s_mov_b32 s18, 0x3ee437d1
	v_pk_mul_f32 v[54:55], v[38:39], s[46:47] op_sel_hi:[1,0]
	v_pk_add_f32 v[32:33], v[18:19], v[28:29]
	v_pk_fma_f32 v[82:83], v[36:37], s[18:19], v[54:55] op_sel:[0,0,1] op_sel_hi:[1,0,0]
	v_pk_fma_f32 v[84:85], v[36:37], s[18:19], v[54:55] op_sel:[0,0,1] op_sel_hi:[1,0,0] neg_lo:[0,0,1] neg_hi:[0,0,1]
	v_pk_mul_f32 v[56:57], v[34:35], s[26:27] op_sel_hi:[1,0]
	v_mov_b32_e32 v54, v82
	v_mov_b32_e32 v55, v85
	v_pk_fma_f32 v[86:87], v[32:33], s[6:7], v[56:57] op_sel:[0,0,1] op_sel_hi:[1,0,0]
	v_pk_fma_f32 v[88:89], v[32:33], s[6:7], v[56:57] op_sel:[0,0,1] op_sel_hi:[1,0,0] neg_lo:[0,0,1] neg_hi:[0,0,1]
	v_pk_add_f32 v[50:51], v[30:31], v[16:17] neg_lo:[0,1] neg_hi:[0,1]
	v_pk_add_f32 v[54:55], v[54:55], v[58:59]
	v_mov_b32_e32 v56, v86
	v_mov_b32_e32 v57, v89
	s_mov_b32 s24, 0xbf763a35
	v_pk_add_f32 v[48:49], v[16:17], v[30:31]
	v_pk_add_f32 v[54:55], v[56:57], v[54:55]
	s_mov_b32 s22, 0xbe8c1d8e
	v_pk_mul_f32 v[56:57], v[50:51], s[24:25] op_sel_hi:[1,0]
	s_mov_b32 s16, 0xbf4c4adb
	v_pk_fma_f32 v[98:99], v[48:49], s[22:23], v[56:57] op_sel:[0,0,1] op_sel_hi:[1,0,0]
	v_pk_fma_f32 v[100:101], v[48:49], s[22:23], v[56:57] op_sel:[0,0,1] op_sel_hi:[1,0,0] neg_lo:[0,0,1] neg_hi:[0,0,1]
	v_mov_b32_e32 v56, v98
	v_mov_b32_e32 v57, v101
	v_pk_add_f32 v[56:57], v[56:57], v[54:55]
	v_pk_add_f32 v[54:55], v[8:9], v[14:15] neg_lo:[0,1] neg_hi:[0,1]
	s_mov_b32 s14, 0xbf1a4643
	v_pk_add_f32 v[44:45], v[14:15], v[8:9]
	v_pk_mul_f32 v[58:59], v[54:55], s[16:17] op_sel_hi:[1,0]
	s_mov_b32 s34, 0xbf06c442
	v_pk_fma_f32 v[104:105], v[44:45], s[14:15], v[58:59] op_sel:[0,0,1] op_sel_hi:[1,0,0]
	v_pk_fma_f32 v[106:107], v[44:45], s[14:15], v[58:59] op_sel:[0,0,1] op_sel_hi:[1,0,0] neg_lo:[0,0,1] neg_hi:[0,0,1]
	v_mov_b32_e32 v58, v104
	v_mov_b32_e32 v59, v107
	v_pk_add_f32 v[62:63], v[58:59], v[56:57]
	v_pk_add_f32 v[58:59], v[10:11], v[12:13] neg_lo:[0,1] neg_hi:[0,1]
	s_mov_b32 s30, 0xbf59a7d5
	v_pk_add_f32 v[56:57], v[12:13], v[10:11]
	v_pk_mul_f32 v[64:65], v[58:59], s[34:35] op_sel_hi:[1,0]
	s_mov_b32 s42, 0xbe3c28d5
	v_pk_fma_f32 v[108:109], v[56:57], s[30:31], v[64:65] op_sel:[0,0,1] op_sel_hi:[1,0,0]
	v_pk_fma_f32 v[110:111], v[56:57], s[30:31], v[64:65] op_sel:[0,0,1] op_sel_hi:[1,0,0] neg_lo:[0,0,1] neg_hi:[0,0,1]
	v_mov_b32_e32 v64, v108
	v_mov_b32_e32 v65, v111
	v_pk_add_f32 v[66:67], v[4:5], v[6:7] neg_lo:[0,1] neg_hi:[0,1]
	v_pk_add_f32 v[62:63], v[64:65], v[62:63]
	s_mov_b32 s38, 0xbf7ba420
	v_pk_add_f32 v[64:65], v[6:7], v[4:5]
	v_pk_mul_f32 v[112:113], v[66:67], s[42:43] op_sel_hi:[1,0]
	s_mov_b32 s52, 0x3f06c442
	v_pk_fma_f32 v[114:115], v[64:65], s[38:39], v[112:113] op_sel:[0,0,1] op_sel_hi:[1,0,0]
	v_pk_fma_f32 v[116:117], v[64:65], s[38:39], v[112:113] op_sel:[0,0,1] op_sel_hi:[1,0,0] neg_lo:[0,0,1] neg_hi:[0,0,1]
	v_mov_b32_e32 v112, v114
	v_mov_b32_e32 v113, v117
	v_pk_add_f32 v[62:63], v[112:113], v[62:63]
	v_pk_mul_f32 v[112:113], v[38:39], s[16:17] op_sel_hi:[1,0]
	v_pk_mul_f32 v[122:123], v[50:51], s[52:53] op_sel_hi:[1,0]
	v_pk_fma_f32 v[136:137], v[36:37], s[14:15], v[112:113] op_sel:[0,0,1] op_sel_hi:[1,0,0]
	v_pk_fma_f32 v[112:113], v[36:37], s[14:15], v[112:113] op_sel:[0,0,1] op_sel_hi:[1,0,0] neg_lo:[0,0,1] neg_hi:[0,0,1]
	v_mov_b32_e32 v118, v136
	v_mov_b32_e32 v119, v113
	v_pk_add_f32 v[60:61], v[118:119], v[60:61]
	v_pk_mul_f32 v[118:119], v[34:35], s[42:43] op_sel_hi:[1,0]
	s_mov_b32 s50, 0x3f763a35
	v_pk_fma_f32 v[138:139], v[32:33], s[38:39], v[118:119] op_sel:[0,0,1] op_sel_hi:[1,0,0]
	v_pk_fma_f32 v[118:119], v[32:33], s[38:39], v[118:119] op_sel:[0,0,1] op_sel_hi:[1,0,0] neg_lo:[0,0,1] neg_hi:[0,0,1]
	v_mov_b32_e32 v120, v138
	v_mov_b32_e32 v121, v119
	v_pk_add_f32 v[60:61], v[120:121], v[60:61]
	v_pk_fma_f32 v[120:121], v[48:49], s[30:31], v[122:123] op_sel:[0,0,1] op_sel_hi:[1,0,0]
	v_pk_fma_f32 v[122:123], v[48:49], s[30:31], v[122:123] op_sel:[0,0,1] op_sel_hi:[1,0,0] neg_lo:[0,0,1] neg_hi:[0,0,1]
	v_mov_b32_e32 v124, v120
	v_mov_b32_e32 v125, v123
	v_pk_mul_f32 v[126:127], v[54:55], s[50:51] op_sel_hi:[1,0]
	v_pk_add_f32 v[60:61], v[124:125], v[60:61]
	v_pk_fma_f32 v[124:125], v[44:45], s[22:23], v[126:127] op_sel:[0,0,1] op_sel_hi:[1,0,0]
	v_pk_fma_f32 v[126:127], v[44:45], s[22:23], v[126:127] op_sel:[0,0,1] op_sel_hi:[1,0,0] neg_lo:[0,0,1] neg_hi:[0,0,1]
	s_mov_b32 s40, 0x3f65296c
	v_mov_b32_e32 v128, v124
	v_mov_b32_e32 v129, v127
	v_pk_mul_f32 v[130:131], v[58:59], s[40:41] op_sel_hi:[1,0]
	v_pk_add_f32 v[60:61], v[128:129], v[60:61]
	v_pk_fma_f32 v[128:129], v[56:57], s[18:19], v[130:131] op_sel:[0,0,1] op_sel_hi:[1,0,0]
	v_pk_fma_f32 v[130:131], v[56:57], s[18:19], v[130:131] op_sel:[0,0,1] op_sel_hi:[1,0,0] neg_lo:[0,0,1] neg_hi:[0,0,1]
	s_mov_b32 s44, 0x3eb8f4ab
	s_load_dwordx2 s[4:5], s[0:1], 0x20
	s_load_dwordx2 s[2:3], s[0:1], 0x8
	v_mov_b32_e32 v132, v128
	v_mov_b32_e32 v133, v131
	v_pk_mul_f32 v[134:135], v[66:67], s[44:45] op_sel_hi:[1,0]
	v_pk_add_f32 v[60:61], v[132:133], v[60:61]
	v_pk_fma_f32 v[132:133], v[64:65], s[20:21], v[134:135] op_sel:[0,0,1] op_sel_hi:[1,0,0]
	v_pk_fma_f32 v[134:135], v[64:65], s[20:21], v[134:135] op_sel:[0,0,1] op_sel_hi:[1,0,0] neg_lo:[0,0,1] neg_hi:[0,0,1]
	v_mov_b32_e32 v142, v132
	v_mov_b32_e32 v143, v135
	v_pk_add_f32 v[60:61], v[142:143], v[60:61]
	v_mul_lo_u16_e32 v226, 17, v230
	s_waitcnt lgkmcnt(0)
	s_barrier
	s_and_saveexec_b64 s[0:1], vcc
	s_cbranch_execz .LBB0_7
; %bb.6:
	v_pk_add_f32 v[2:3], v[2:3], v[0:1]
	v_mov_b32_e32 v77, v75
	v_pk_add_f32 v[2:3], v[20:21], v[2:3]
	v_mov_b32_e32 v81, v79
	;; [unrolled: 2-line block ×7, first 2 shown]
	v_pk_add_f32 v[2:3], v[4:5], v[2:3]
	v_pk_add_f32 v[4:5], v[76:77], v[0:1]
	v_pk_add_f32 v[2:3], v[6:7], v[2:3]
	v_pk_add_f32 v[4:5], v[80:81], v[4:5]
	v_pk_add_f32 v[2:3], v[12:13], v[2:3]
	v_pk_add_f32 v[4:5], v[84:85], v[4:5]
	v_pk_add_f32 v[2:3], v[14:15], v[2:3]
	v_pk_add_f32 v[4:5], v[88:89], v[4:5]
	v_pk_add_f32 v[2:3], v[16:17], v[2:3]
	v_pk_add_f32 v[4:5], v[100:101], v[4:5]
	v_pk_add_f32 v[2:3], v[18:19], v[2:3]
	v_pk_add_f32 v[4:5], v[106:107], v[4:5]
	v_pk_add_f32 v[2:3], v[24:25], v[2:3]
	v_pk_add_f32 v[4:5], v[110:111], v[4:5]
	v_pk_add_f32 v[2:3], v[26:27], v[2:3]
	v_mov_b32_e32 v117, v115
	v_mov_b32_e32 v71, v91
	v_add_lshl_u32 v95, v140, v226, 3
	v_pk_add_f32 v[2:3], v[68:69], v[2:3]
	v_pk_add_f32 v[4:5], v[116:117], v[4:5]
	v_mov_b32_e32 v73, v103
	ds_write2_b64 v95, v[2:3], v[4:5] offset1:1
	v_pk_add_f32 v[2:3], v[70:71], v[0:1]
	v_mov_b32_e32 v113, v137
	v_pk_add_f32 v[2:3], v[72:73], v[2:3]
	v_mov_b32_e32 v119, v139
	;; [unrolled: 2-line block ×6, first 2 shown]
	v_pk_add_f32 v[2:3], v[130:131], v[2:3]
	v_pk_mul_f32 v[4:5], v[52:53], s[46:47] op_sel_hi:[1,0]
	v_pk_add_f32 v[70:71], v[134:135], v[2:3]
	v_pk_fma_f32 v[2:3], v[42:43], s[18:19], v[4:5] op_sel:[0,0,1] op_sel_hi:[1,0,0] neg_lo:[0,0,1] neg_hi:[0,0,1]
	v_pk_fma_f32 v[4:5], v[42:43], s[18:19], v[4:5] op_sel:[0,0,1] op_sel_hi:[1,0,0]
	v_pk_mul_f32 v[8:9], v[46:47], s[16:17] op_sel_hi:[1,0]
	v_mov_b32_e32 v6, v2
	v_mov_b32_e32 v7, v5
	s_mov_b32 s48, 0x3e3c28d5
	v_pk_add_f32 v[10:11], v[6:7], v[0:1]
	v_pk_fma_f32 v[6:7], v[40:41], s[14:15], v[8:9] op_sel:[0,0,1] op_sel_hi:[1,0,0] neg_lo:[0,0,1] neg_hi:[0,0,1]
	v_pk_fma_f32 v[8:9], v[40:41], s[14:15], v[8:9] op_sel:[0,0,1] op_sel_hi:[1,0,0]
	v_pk_mul_f32 v[12:13], v[38:39], s[48:49] op_sel_hi:[1,0]
	v_mov_b32_e32 v14, v6
	v_mov_b32_e32 v15, v9
	v_pk_add_f32 v[14:15], v[14:15], v[10:11]
	v_pk_fma_f32 v[10:11], v[36:37], s[38:39], v[12:13] op_sel:[0,0,1] op_sel_hi:[1,0,0] neg_lo:[0,0,1] neg_hi:[0,0,1]
	v_pk_fma_f32 v[12:13], v[36:37], s[38:39], v[12:13] op_sel:[0,0,1] op_sel_hi:[1,0,0]
	v_pk_mul_f32 v[16:17], v[34:35], s[50:51] op_sel_hi:[1,0]
	v_mov_b32_e32 v18, v10
	v_mov_b32_e32 v19, v13
	s_mov_b32 s48, 0x3f2c7751
	v_pk_add_f32 v[18:19], v[18:19], v[14:15]
	v_pk_fma_f32 v[14:15], v[32:33], s[22:23], v[16:17] op_sel:[0,0,1] op_sel_hi:[1,0,0] neg_lo:[0,0,1] neg_hi:[0,0,1]
	v_pk_fma_f32 v[16:17], v[32:33], s[22:23], v[16:17] op_sel:[0,0,1] op_sel_hi:[1,0,0]
	v_pk_mul_f32 v[20:21], v[50:51], s[48:49] op_sel_hi:[1,0]
	v_mov_b32_e32 v22, v14
	v_mov_b32_e32 v23, v17
	v_pk_add_f32 v[22:23], v[22:23], v[18:19]
	v_pk_fma_f32 v[18:19], v[48:49], s[10:11], v[20:21] op_sel:[0,0,1] op_sel_hi:[1,0,0] neg_lo:[0,0,1] neg_hi:[0,0,1]
	v_pk_fma_f32 v[20:21], v[48:49], s[10:11], v[20:21] op_sel:[0,0,1] op_sel_hi:[1,0,0]
	v_pk_mul_f32 v[24:25], v[54:55], s[28:29] op_sel_hi:[1,0]
	v_mov_b32_e32 v26, v18
	v_mov_b32_e32 v27, v21
	;; [unrolled: 6-line block ×4, first 2 shown]
	v_pk_add_f32 v[72:73], v[72:73], v[30:31]
	v_pk_fma_f32 v[30:31], v[64:65], s[30:31], v[68:69] op_sel:[0,0,1] op_sel_hi:[1,0,0] neg_lo:[0,0,1] neg_hi:[0,0,1]
	v_pk_fma_f32 v[68:69], v[64:65], s[30:31], v[68:69] op_sel:[0,0,1] op_sel_hi:[1,0,0]
	v_mov_b32_e32 v74, v30
	v_mov_b32_e32 v75, v69
	v_pk_add_f32 v[72:73], v[74:75], v[72:73]
	ds_write2_b64 v95, v[70:71], v[72:73] offset0:2 offset1:3
	v_pk_mul_f32 v[72:73], v[52:53], s[26:27] op_sel_hi:[1,0]
	v_pk_mul_f32 v[76:77], v[46:47], s[42:43] op_sel_hi:[1,0]
	v_pk_fma_f32 v[70:71], v[42:43], s[6:7], v[72:73] op_sel:[0,0,1] op_sel_hi:[1,0,0] neg_lo:[0,0,1] neg_hi:[0,0,1]
	v_pk_fma_f32 v[72:73], v[42:43], s[6:7], v[72:73] op_sel:[0,0,1] op_sel_hi:[1,0,0]
	v_mov_b32_e32 v74, v70
	v_mov_b32_e32 v75, v73
	v_pk_add_f32 v[78:79], v[74:75], v[0:1]
	v_pk_fma_f32 v[74:75], v[40:41], s[38:39], v[76:77] op_sel:[0,0,1] op_sel_hi:[1,0,0] neg_lo:[0,0,1] neg_hi:[0,0,1]
	v_pk_fma_f32 v[76:77], v[40:41], s[38:39], v[76:77] op_sel:[0,0,1] op_sel_hi:[1,0,0]
	v_pk_mul_f32 v[80:81], v[38:39], s[50:51] op_sel_hi:[1,0]
	v_mov_b32_e32 v82, v74
	v_mov_b32_e32 v83, v77
	v_pk_add_f32 v[82:83], v[82:83], v[78:79]
	v_pk_fma_f32 v[78:79], v[36:37], s[22:23], v[80:81] op_sel:[0,0,1] op_sel_hi:[1,0,0] neg_lo:[0,0,1] neg_hi:[0,0,1]
	v_pk_fma_f32 v[80:81], v[36:37], s[22:23], v[80:81] op_sel:[0,0,1] op_sel_hi:[1,0,0]
	v_pk_mul_f32 v[84:85], v[34:35], s[44:45] op_sel_hi:[1,0]
	;; [unrolled: 6-line block ×4, first 2 shown]
	v_mov_b32_e32 v100, v86
	v_mov_b32_e32 v101, v89
	s_mov_b32 s54, 0x3f4c4adb
	v_pk_add_f32 v[100:101], v[100:101], v[90:91]
	v_pk_fma_f32 v[90:91], v[44:45], s[30:31], v[98:99] op_sel:[0,0,1] op_sel_hi:[1,0,0] neg_lo:[0,0,1] neg_hi:[0,0,1]
	v_pk_fma_f32 v[98:99], v[44:45], s[30:31], v[98:99] op_sel:[0,0,1] op_sel_hi:[1,0,0]
	v_pk_mul_f32 v[102:103], v[58:59], s[54:55] op_sel_hi:[1,0]
	v_mov_b32_e32 v104, v90
	v_mov_b32_e32 v105, v99
	v_pk_add_f32 v[104:105], v[104:105], v[100:101]
	v_pk_fma_f32 v[100:101], v[56:57], s[14:15], v[102:103] op_sel:[0,0,1] op_sel_hi:[1,0,0] neg_lo:[0,0,1] neg_hi:[0,0,1]
	v_pk_fma_f32 v[102:103], v[56:57], s[14:15], v[102:103] op_sel:[0,0,1] op_sel_hi:[1,0,0]
	v_pk_mul_f32 v[106:107], v[66:67], s[48:49] op_sel_hi:[1,0]
	v_mov_b32_e32 v108, v100
	v_mov_b32_e32 v109, v103
	v_pk_add_f32 v[108:109], v[108:109], v[104:105]
	v_pk_fma_f32 v[104:105], v[64:65], s[10:11], v[106:107] op_sel:[0,0,1] op_sel_hi:[1,0,0] neg_lo:[0,0,1] neg_hi:[0,0,1]
	v_pk_fma_f32 v[106:107], v[64:65], s[10:11], v[106:107] op_sel:[0,0,1] op_sel_hi:[1,0,0]
	v_mov_b32_e32 v110, v104
	v_mov_b32_e32 v111, v107
	v_pk_add_f32 v[142:143], v[110:111], v[108:109]
	v_pk_mul_f32 v[110:111], v[52:53], s[24:25] op_sel_hi:[1,0]
	v_pk_mul_f32 v[114:115], v[46:47], s[52:53] op_sel_hi:[1,0]
	v_pk_fma_f32 v[108:109], v[42:43], s[22:23], v[110:111] op_sel:[0,0,1] op_sel_hi:[1,0,0] neg_lo:[0,0,1] neg_hi:[0,0,1]
	v_pk_fma_f32 v[110:111], v[42:43], s[22:23], v[110:111] op_sel:[0,0,1] op_sel_hi:[1,0,0]
	v_mov_b32_e32 v112, v108
	v_mov_b32_e32 v113, v111
	v_pk_add_f32 v[116:117], v[112:113], v[0:1]
	v_pk_fma_f32 v[112:113], v[40:41], s[30:31], v[114:115] op_sel:[0,0,1] op_sel_hi:[1,0,0] neg_lo:[0,0,1] neg_hi:[0,0,1]
	v_pk_fma_f32 v[114:115], v[40:41], s[30:31], v[114:115] op_sel:[0,0,1] op_sel_hi:[1,0,0]
	v_pk_mul_f32 v[118:119], v[38:39], s[48:49] op_sel_hi:[1,0]
	v_mov_b32_e32 v120, v112
	v_mov_b32_e32 v121, v115
	v_pk_add_f32 v[120:121], v[120:121], v[116:117]
	v_pk_fma_f32 v[116:117], v[36:37], s[10:11], v[118:119] op_sel:[0,0,1] op_sel_hi:[1,0,0] neg_lo:[0,0,1] neg_hi:[0,0,1]
	v_pk_fma_f32 v[118:119], v[36:37], s[10:11], v[118:119] op_sel:[0,0,1] op_sel_hi:[1,0,0]
	v_mov_b32_e32 v122, v116
	v_mov_b32_e32 v123, v119
	v_pk_add_f32 v[124:125], v[122:123], v[120:121]
	v_pk_mul_f32 v[122:123], v[34:35], s[46:47] op_sel_hi:[1,0]
	s_mov_b32 s46, 0x3f7ee86f
	v_pk_fma_f32 v[120:121], v[32:33], s[18:19], v[122:123] op_sel:[0,0,1] op_sel_hi:[1,0,0] neg_lo:[0,0,1] neg_hi:[0,0,1]
	v_pk_fma_f32 v[122:123], v[32:33], s[18:19], v[122:123] op_sel:[0,0,1] op_sel_hi:[1,0,0]
	v_mov_b32_e32 v126, v120
	v_mov_b32_e32 v127, v123
	v_pk_add_f32 v[128:129], v[126:127], v[124:125]
	v_pk_mul_f32 v[126:127], v[50:51], s[42:43] op_sel_hi:[1,0]
	v_pk_mul_f32 v[148:149], v[46:47], s[50:51] op_sel_hi:[1,0]
	v_pk_fma_f32 v[124:125], v[48:49], s[38:39], v[126:127] op_sel:[0,0,1] op_sel_hi:[1,0,0] neg_lo:[0,0,1] neg_hi:[0,0,1]
	v_pk_fma_f32 v[126:127], v[48:49], s[38:39], v[126:127] op_sel:[0,0,1] op_sel_hi:[1,0,0]
	v_mov_b32_e32 v130, v124
	v_mov_b32_e32 v131, v127
	v_pk_add_f32 v[132:133], v[130:131], v[128:129]
	v_pk_mul_f32 v[130:131], v[54:55], s[46:47] op_sel_hi:[1,0]
	v_pk_fma_f32 v[150:151], v[40:41], s[22:23], v[148:149] op_sel:[0,0,1] op_sel_hi:[1,0,0] neg_lo:[0,0,1] neg_hi:[0,0,1]
	v_pk_fma_f32 v[128:129], v[44:45], s[6:7], v[130:131] op_sel:[0,0,1] op_sel_hi:[1,0,0] neg_lo:[0,0,1] neg_hi:[0,0,1]
	v_pk_fma_f32 v[130:131], v[44:45], s[6:7], v[130:131] op_sel:[0,0,1] op_sel_hi:[1,0,0]
	v_mov_b32_e32 v134, v128
	v_mov_b32_e32 v135, v131
	v_pk_add_f32 v[136:137], v[134:135], v[132:133]
	v_pk_mul_f32 v[134:135], v[58:59], s[28:29] op_sel_hi:[1,0]
	v_pk_fma_f32 v[148:149], v[40:41], s[22:23], v[148:149] op_sel:[0,0,1] op_sel_hi:[1,0,0]
	v_pk_fma_f32 v[132:133], v[56:57], s[20:21], v[134:135] op_sel:[0,0,1] op_sel_hi:[1,0,0] neg_lo:[0,0,1] neg_hi:[0,0,1]
	v_pk_fma_f32 v[134:135], v[56:57], s[20:21], v[134:135] op_sel:[0,0,1] op_sel_hi:[1,0,0]
	v_mov_b32_e32 v138, v132
	v_mov_b32_e32 v139, v135
	v_pk_add_f32 v[144:145], v[138:139], v[136:137]
	v_pk_mul_f32 v[138:139], v[66:67], s[16:17] op_sel_hi:[1,0]
	v_mov_b32_e32 v152, v150
	v_pk_fma_f32 v[136:137], v[64:65], s[14:15], v[138:139] op_sel:[0,0,1] op_sel_hi:[1,0,0] neg_lo:[0,0,1] neg_hi:[0,0,1]
	v_pk_fma_f32 v[138:139], v[64:65], s[14:15], v[138:139] op_sel:[0,0,1] op_sel_hi:[1,0,0]
	v_mov_b32_e32 v146, v136
	v_mov_b32_e32 v147, v139
	v_pk_add_f32 v[144:145], v[146:147], v[144:145]
	ds_write2_b64 v95, v[142:143], v[144:145] offset0:4 offset1:5
	v_pk_mul_f32 v[142:143], v[52:53], s[16:17] op_sel_hi:[1,0]
	v_mov_b32_e32 v153, v149
	v_pk_fma_f32 v[144:145], v[42:43], s[14:15], v[142:143] op_sel:[0,0,1] op_sel_hi:[1,0,0] neg_lo:[0,0,1] neg_hi:[0,0,1]
	v_pk_fma_f32 v[142:143], v[42:43], s[14:15], v[142:143] op_sel:[0,0,1] op_sel_hi:[1,0,0]
	v_mov_b32_e32 v146, v144
	v_mov_b32_e32 v147, v143
	v_pk_add_f32 v[146:147], v[146:147], v[0:1]
	v_pk_mul_f32 v[182:183], v[46:47], s[40:41] op_sel_hi:[1,0]
	v_pk_add_f32 v[146:147], v[152:153], v[146:147]
	v_pk_mul_f32 v[152:153], v[38:39], s[28:29] op_sel_hi:[1,0]
	v_pk_fma_f32 v[184:185], v[40:41], s[18:19], v[182:183] op_sel:[0,0,1] op_sel_hi:[1,0,0] neg_lo:[0,0,1] neg_hi:[0,0,1]
	v_pk_fma_f32 v[154:155], v[36:37], s[20:21], v[152:153] op_sel:[0,0,1] op_sel_hi:[1,0,0] neg_lo:[0,0,1] neg_hi:[0,0,1]
	v_pk_fma_f32 v[152:153], v[36:37], s[20:21], v[152:153] op_sel:[0,0,1] op_sel_hi:[1,0,0]
	v_mov_b32_e32 v156, v154
	v_mov_b32_e32 v157, v153
	v_pk_add_f32 v[146:147], v[156:157], v[146:147]
	v_pk_mul_f32 v[156:157], v[34:35], s[34:35] op_sel_hi:[1,0]
	v_pk_fma_f32 v[182:183], v[40:41], s[18:19], v[182:183] op_sel:[0,0,1] op_sel_hi:[1,0,0]
	v_pk_fma_f32 v[158:159], v[32:33], s[30:31], v[156:157] op_sel:[0,0,1] op_sel_hi:[1,0,0] neg_lo:[0,0,1] neg_hi:[0,0,1]
	v_pk_fma_f32 v[156:157], v[32:33], s[30:31], v[156:157] op_sel:[0,0,1] op_sel_hi:[1,0,0]
	v_mov_b32_e32 v160, v158
	v_mov_b32_e32 v161, v157
	v_pk_add_f32 v[146:147], v[160:161], v[146:147]
	v_pk_mul_f32 v[160:161], v[50:51], s[46:47] op_sel_hi:[1,0]
	v_mov_b32_e32 v186, v184
	v_pk_fma_f32 v[162:163], v[48:49], s[6:7], v[160:161] op_sel:[0,0,1] op_sel_hi:[1,0,0] neg_lo:[0,0,1] neg_hi:[0,0,1]
	v_pk_fma_f32 v[160:161], v[48:49], s[6:7], v[160:161] op_sel:[0,0,1] op_sel_hi:[1,0,0]
	v_mov_b32_e32 v164, v162
	v_mov_b32_e32 v165, v161
	v_pk_add_f32 v[146:147], v[164:165], v[146:147]
	v_pk_mul_f32 v[164:165], v[54:55], s[36:37] op_sel_hi:[1,0]
	v_mov_b32_e32 v187, v183
	v_pk_fma_f32 v[166:167], v[44:45], s[10:11], v[164:165] op_sel:[0,0,1] op_sel_hi:[1,0,0] neg_lo:[0,0,1] neg_hi:[0,0,1]
	v_pk_fma_f32 v[164:165], v[44:45], s[10:11], v[164:165] op_sel:[0,0,1] op_sel_hi:[1,0,0]
	v_mov_b32_e32 v168, v166
	v_mov_b32_e32 v169, v165
	v_pk_add_f32 v[146:147], v[168:169], v[146:147]
	v_pk_mul_f32 v[168:169], v[58:59], s[42:43] op_sel_hi:[1,0]
	v_pk_mul_f32 v[46:47], v[46:47], s[44:45] op_sel_hi:[1,0]
	v_pk_fma_f32 v[170:171], v[56:57], s[38:39], v[168:169] op_sel:[0,0,1] op_sel_hi:[1,0,0] neg_lo:[0,0,1] neg_hi:[0,0,1]
	v_pk_fma_f32 v[168:169], v[56:57], s[38:39], v[168:169] op_sel:[0,0,1] op_sel_hi:[1,0,0]
	v_mov_b32_e32 v172, v170
	v_mov_b32_e32 v173, v169
	v_pk_add_f32 v[146:147], v[172:173], v[146:147]
	v_pk_mul_f32 v[172:173], v[66:67], s[40:41] op_sel_hi:[1,0]
	v_mov_b32_e32 v143, v145
	v_pk_fma_f32 v[174:175], v[64:65], s[18:19], v[172:173] op_sel:[0,0,1] op_sel_hi:[1,0,0] neg_lo:[0,0,1] neg_hi:[0,0,1]
	v_pk_fma_f32 v[172:173], v[64:65], s[18:19], v[172:173] op_sel:[0,0,1] op_sel_hi:[1,0,0]
	v_mov_b32_e32 v176, v174
	v_mov_b32_e32 v177, v173
	v_pk_add_f32 v[146:147], v[176:177], v[146:147]
	v_pk_mul_f32 v[176:177], v[52:53], s[34:35] op_sel_hi:[1,0]
	v_pk_mul_f32 v[52:53], v[52:53], s[42:43] op_sel_hi:[1,0]
	v_pk_fma_f32 v[178:179], v[42:43], s[30:31], v[176:177] op_sel:[0,0,1] op_sel_hi:[1,0,0] neg_lo:[0,0,1] neg_hi:[0,0,1]
	v_pk_fma_f32 v[176:177], v[42:43], s[30:31], v[176:177] op_sel:[0,0,1] op_sel_hi:[1,0,0]
	v_mov_b32_e32 v180, v178
	v_mov_b32_e32 v181, v177
	v_pk_add_f32 v[180:181], v[180:181], v[0:1]
	v_mov_b32_e32 v177, v179
	v_pk_add_f32 v[180:181], v[186:187], v[180:181]
	v_pk_mul_f32 v[186:187], v[38:39], s[26:27] op_sel_hi:[1,0]
	v_pk_mul_f32 v[38:39], v[38:39], s[34:35] op_sel_hi:[1,0]
	v_pk_fma_f32 v[188:189], v[36:37], s[6:7], v[186:187] op_sel:[0,0,1] op_sel_hi:[1,0,0] neg_lo:[0,0,1] neg_hi:[0,0,1]
	v_pk_fma_f32 v[186:187], v[36:37], s[6:7], v[186:187] op_sel:[0,0,1] op_sel_hi:[1,0,0]
	v_mov_b32_e32 v190, v188
	v_mov_b32_e32 v191, v187
	v_pk_add_f32 v[180:181], v[190:191], v[180:181]
	v_pk_mul_f32 v[190:191], v[34:35], s[54:55] op_sel_hi:[1,0]
	v_pk_mul_f32 v[34:35], v[34:35], s[48:49] op_sel_hi:[1,0]
	v_pk_fma_f32 v[192:193], v[32:33], s[14:15], v[190:191] op_sel:[0,0,1] op_sel_hi:[1,0,0] neg_lo:[0,0,1] neg_hi:[0,0,1]
	v_pk_fma_f32 v[190:191], v[32:33], s[14:15], v[190:191] op_sel:[0,0,1] op_sel_hi:[1,0,0]
	v_mov_b32_e32 v194, v192
	v_mov_b32_e32 v195, v191
	v_pk_add_f32 v[180:181], v[194:195], v[180:181]
	v_pk_mul_f32 v[194:195], v[50:51], s[28:29] op_sel_hi:[1,0]
	v_mov_b32_e32 v183, v185
	v_pk_fma_f32 v[196:197], v[48:49], s[20:21], v[194:195] op_sel:[0,0,1] op_sel_hi:[1,0,0] neg_lo:[0,0,1] neg_hi:[0,0,1]
	v_pk_fma_f32 v[194:195], v[48:49], s[20:21], v[194:195] op_sel:[0,0,1] op_sel_hi:[1,0,0]
	v_mov_b32_e32 v198, v196
	v_mov_b32_e32 v199, v195
	v_pk_add_f32 v[180:181], v[198:199], v[180:181]
	v_pk_mul_f32 v[198:199], v[54:55], s[42:43] op_sel_hi:[1,0]
	v_mov_b32_e32 v149, v151
	;; [unrolled: 7-line block ×4, first 2 shown]
	v_pk_fma_f32 v[208:209], v[64:65], s[22:23], v[206:207] op_sel:[0,0,1] op_sel_hi:[1,0,0] neg_lo:[0,0,1] neg_hi:[0,0,1]
	v_pk_fma_f32 v[206:207], v[64:65], s[22:23], v[206:207] op_sel:[0,0,1] op_sel_hi:[1,0,0]
	v_mov_b32_e32 v210, v208
	v_mov_b32_e32 v211, v207
	v_pk_add_f32 v[180:181], v[210:211], v[180:181]
	ds_write2_b64 v95, v[146:147], v[180:181] offset0:6 offset1:7
	v_pk_fma_f32 v[146:147], v[42:43], s[38:39], v[52:53] op_sel:[0,0,1] op_sel_hi:[1,0,0] neg_lo:[0,0,1] neg_hi:[0,0,1]
	v_pk_fma_f32 v[42:43], v[42:43], s[38:39], v[52:53] op_sel:[0,0,1] op_sel_hi:[1,0,0]
	v_pk_fma_f32 v[52:53], v[40:41], s[20:21], v[46:47] op_sel:[0,0,1] op_sel_hi:[1,0,0] neg_lo:[0,0,1] neg_hi:[0,0,1]
	v_pk_fma_f32 v[40:41], v[40:41], s[20:21], v[46:47] op_sel:[0,0,1] op_sel_hi:[1,0,0]
	v_mov_b32_e32 v46, v146
	v_mov_b32_e32 v47, v43
	v_pk_add_f32 v[46:47], v[46:47], v[0:1]
	v_mov_b32_e32 v180, v52
	v_mov_b32_e32 v181, v41
	v_pk_add_f32 v[46:47], v[180:181], v[46:47]
	v_pk_fma_f32 v[180:181], v[36:37], s[30:31], v[38:39] op_sel:[0,0,1] op_sel_hi:[1,0,0] neg_lo:[0,0,1] neg_hi:[0,0,1]
	v_pk_fma_f32 v[36:37], v[36:37], s[30:31], v[38:39] op_sel:[0,0,1] op_sel_hi:[1,0,0]
	v_mov_b32_e32 v38, v180
	v_mov_b32_e32 v39, v37
	v_pk_add_f32 v[38:39], v[38:39], v[46:47]
	v_pk_fma_f32 v[46:47], v[32:33], s[10:11], v[34:35] op_sel:[0,0,1] op_sel_hi:[1,0,0] neg_lo:[0,0,1] neg_hi:[0,0,1]
	v_pk_fma_f32 v[32:33], v[32:33], s[10:11], v[34:35] op_sel:[0,0,1] op_sel_hi:[1,0,0]
	v_mov_b32_e32 v34, v46
	v_mov_b32_e32 v35, v33
	v_pk_add_f32 v[34:35], v[34:35], v[38:39]
	v_pk_mul_f32 v[38:39], v[50:51], s[16:17] op_sel_hi:[1,0]
	v_mov_b32_e32 v43, v147
	v_pk_fma_f32 v[50:51], v[48:49], s[14:15], v[38:39] op_sel:[0,0,1] op_sel_hi:[1,0,0] neg_lo:[0,0,1] neg_hi:[0,0,1]
	v_pk_fma_f32 v[38:39], v[48:49], s[14:15], v[38:39] op_sel:[0,0,1] op_sel_hi:[1,0,0]
	v_mov_b32_e32 v48, v50
	v_mov_b32_e32 v49, v39
	v_pk_add_f32 v[34:35], v[48:49], v[34:35]
	v_pk_mul_f32 v[48:49], v[54:55], s[40:41] op_sel_hi:[1,0]
	v_mov_b32_e32 v41, v53
	v_pk_fma_f32 v[54:55], v[44:45], s[18:19], v[48:49] op_sel:[0,0,1] op_sel_hi:[1,0,0] neg_lo:[0,0,1] neg_hi:[0,0,1]
	v_pk_fma_f32 v[44:45], v[44:45], s[18:19], v[48:49] op_sel:[0,0,1] op_sel_hi:[1,0,0]
	v_mov_b32_e32 v48, v54
	v_mov_b32_e32 v49, v45
	v_pk_add_f32 v[42:43], v[42:43], v[0:1]
	v_pk_add_f32 v[34:35], v[48:49], v[34:35]
	v_pk_mul_f32 v[48:49], v[58:59], s[24:25] op_sel_hi:[1,0]
	v_pk_add_f32 v[40:41], v[40:41], v[42:43]
	v_mov_b32_e32 v37, v181
	v_pk_fma_f32 v[58:59], v[56:57], s[22:23], v[48:49] op_sel:[0,0,1] op_sel_hi:[1,0,0] neg_lo:[0,0,1] neg_hi:[0,0,1]
	v_pk_fma_f32 v[48:49], v[56:57], s[22:23], v[48:49] op_sel:[0,0,1] op_sel_hi:[1,0,0]
	v_pk_add_f32 v[36:37], v[36:37], v[40:41]
	v_mov_b32_e32 v33, v47
	v_mov_b32_e32 v56, v58
	;; [unrolled: 1-line block ×3, first 2 shown]
	v_pk_add_f32 v[32:33], v[32:33], v[36:37]
	v_mov_b32_e32 v39, v51
	v_pk_add_f32 v[34:35], v[56:57], v[34:35]
	v_pk_mul_f32 v[56:57], v[66:67], s[46:47] op_sel_hi:[1,0]
	v_pk_add_f32 v[32:33], v[38:39], v[32:33]
	v_mov_b32_e32 v45, v55
	v_pk_fma_f32 v[66:67], v[64:65], s[6:7], v[56:57] op_sel:[0,0,1] op_sel_hi:[1,0,0] neg_lo:[0,0,1] neg_hi:[0,0,1]
	v_pk_fma_f32 v[56:57], v[64:65], s[6:7], v[56:57] op_sel:[0,0,1] op_sel_hi:[1,0,0]
	v_pk_add_f32 v[32:33], v[44:45], v[32:33]
	v_mov_b32_e32 v49, v59
	v_mov_b32_e32 v64, v66
	v_mov_b32_e32 v65, v57
	v_pk_add_f32 v[32:33], v[48:49], v[32:33]
	v_mov_b32_e32 v57, v67
	v_pk_add_f32 v[34:35], v[64:65], v[34:35]
	v_pk_add_f32 v[32:33], v[56:57], v[32:33]
	ds_write2_b64 v95, v[34:35], v[32:33] offset0:8 offset1:9
	v_pk_add_f32 v[32:33], v[176:177], v[0:1]
	v_pk_add_f32 v[34:35], v[142:143], v[0:1]
	;; [unrolled: 1-line block ×5, first 2 shown]
	v_mov_b32_e32 v191, v193
	v_pk_add_f32 v[34:35], v[152:153], v[34:35]
	v_mov_b32_e32 v157, v159
	v_pk_add_f32 v[32:33], v[190:191], v[32:33]
	;; [unrolled: 2-line block ×10, first 2 shown]
	v_pk_add_f32 v[34:35], v[172:173], v[34:35]
	v_mov_b32_e32 v111, v109
	v_mov_b32_e32 v73, v71
	;; [unrolled: 1-line block ×3, first 2 shown]
	ds_write2_b64 v95, v[32:33], v[34:35] offset0:10 offset1:11
	v_pk_add_f32 v[32:33], v[110:111], v[0:1]
	v_mov_b32_e32 v115, v113
	v_pk_add_f32 v[34:35], v[72:73], v[0:1]
	v_mov_b32_e32 v77, v75
	;; [unrolled: 2-line block ×21, first 2 shown]
	v_pk_add_f32 v[32:33], v[138:139], v[32:33]
	v_pk_add_f32 v[34:35], v[106:107], v[34:35]
	;; [unrolled: 1-line block ×3, first 2 shown]
	ds_write2_b64 v95, v[32:33], v[34:35] offset0:12 offset1:13
	ds_write2_b64 v95, v[0:1], v[60:61] offset0:14 offset1:15
	ds_write_b64 v95, v[62:63] offset:128
.LBB0_7:
	s_or_b64 exec, exec, s[0:1]
	v_add_lshl_u32 v97, v140, v230, 3
	v_add_u32_e32 v0, 0x400, v97
	s_waitcnt lgkmcnt(0)
	s_barrier
	ds_read2_b64 v[32:35], v0 offset0:42 offset1:144
	v_add_u32_e32 v0, 0x1000, v97
	ds_read2_b64 v[56:59], v0 offset0:32 offset1:117
	v_add_u32_e32 v0, 0x1400, v97
	;; [unrolled: 2-line block ×5, first 2 shown]
	ds_read2_b64 v[48:51], v97 offset1:85
	ds_read2_b64 v[40:43], v0 offset0:133 offset1:218
	ds_read_b64 v[64:65], v97 offset:10064
	v_cmp_gt_u16_e64 s[0:1], 17, v230
                                        ; implicit-def: $vgpr68
                                        ; implicit-def: $vgpr66
                                        ; implicit-def: $vgpr70
                                        ; implicit-def: $vgpr74
                                        ; implicit-def: $vgpr72
                                        ; implicit-def: $vgpr76
	s_and_saveexec_b64 s[6:7], s[0:1]
	s_cbranch_execz .LBB0_9
; %bb.8:
	ds_read_b64 v[68:69], v97 offset:6392
	ds_read_b64 v[70:71], v97 offset:8568
	;; [unrolled: 1-line block ×5, first 2 shown]
	s_waitcnt lgkmcnt(4)
	v_mov_b32_e32 v66, v69
	s_waitcnt lgkmcnt(3)
	v_mov_b32_e32 v74, v71
	;; [unrolled: 2-line block ×3, first 2 shown]
.LBB0_9:
	s_or_b64 exec, exec, s[6:7]
	s_movk_i32 s11, 0xf1
	v_add_u32_e32 v4, 0xff, v230
	s_mov_b32 s6, 0xf0f1
	v_mul_lo_u16_sdwa v0, v230, s11 dst_sel:DWORD dst_unused:UNUSED_PAD src0_sel:BYTE_0 src1_sel:DWORD
	v_mul_u32_u24_sdwa v5, v4, s6 dst_sel:DWORD dst_unused:UNUSED_PAD src0_sel:WORD_0 src1_sel:DWORD
	v_lshrrev_b16_e32 v0, 12, v0
	v_lshrrev_b32_e32 v5, 20, v5
	v_mul_lo_u16_e32 v1, 17, v0
	v_mul_lo_u16_e32 v5, 17, v5
	v_sub_u16_e32 v1, v230, v1
	v_mov_b32_e32 v2, 5
	v_sub_u16_e32 v102, v4, v5
	v_lshlrev_b32_sdwa v3, v2, v1 dst_sel:DWORD dst_unused:UNUSED_PAD src0_sel:DWORD src1_sel:BYTE_0
	v_lshlrev_b16_e32 v4, 2, v102
	global_load_dwordx4 v[8:11], v3, s[2:3]
	v_lshlrev_b32_e32 v4, 3, v4
	global_load_dwordx4 v[104:107], v4, s[2:3]
	global_load_dwordx4 v[98:101], v4, s[2:3] offset:16
	global_load_dwordx4 v[12:15], v3, s[2:3] offset:16
	v_add_u16_e32 v3, 0x55, v230
	v_add_u16_e32 v4, 0xaa, v230
	v_mul_lo_u16_sdwa v5, v3, s11 dst_sel:DWORD dst_unused:UNUSED_PAD src0_sel:BYTE_0 src1_sel:DWORD
	v_mul_lo_u16_sdwa v6, v4, s11 dst_sel:DWORD dst_unused:UNUSED_PAD src0_sel:BYTE_0 src1_sel:DWORD
	v_lshrrev_b16_e32 v5, 12, v5
	v_lshrrev_b16_e32 v6, 12, v6
	v_mul_lo_u16_e32 v7, 17, v5
	v_mul_lo_u16_e32 v16, 17, v6
	v_sub_u16_e32 v3, v3, v7
	v_sub_u16_e32 v4, v4, v16
	v_lshlrev_b32_sdwa v7, v2, v3 dst_sel:DWORD dst_unused:UNUSED_PAD src0_sel:DWORD src1_sel:BYTE_0
	s_load_dwordx4 s[4:7], s[4:5], 0x0
	v_lshlrev_b32_sdwa v2, v2, v4 dst_sel:DWORD dst_unused:UNUSED_PAD src0_sel:DWORD src1_sel:BYTE_0
	global_load_dwordx4 v[20:23], v7, s[2:3] offset:16
	global_load_dwordx4 v[28:31], v7, s[2:3]
	global_load_dwordx4 v[16:19], v2, s[2:3] offset:16
	global_load_dwordx4 v[24:27], v2, s[2:3]
	s_waitcnt lgkmcnt(0)
	v_mov_b32_e32 v78, v63
	s_mov_b32 s14, 0x3f737871
	s_mov_b32 s16, 0x3f167918
	;; [unrolled: 1-line block ×3, first 2 shown]
	v_mul_u32_u24_e32 v0, 0x55, v0
	v_add_u32_sdwa v0, v0, v1 dst_sel:DWORD dst_unused:UNUSED_PAD src0_sel:DWORD src1_sel:BYTE_0
	v_add_lshl_u32 v103, v140, v0, 3
	s_barrier
	v_mul_u32_u24_e32 v0, 0x55, v5
	v_add_u32_sdwa v0, v0, v3 dst_sel:DWORD dst_unused:UNUSED_PAD src0_sel:DWORD src1_sel:BYTE_0
	v_add_lshl_u32 v111, v140, v0, 3
	v_mul_u32_u24_e32 v0, 0x55, v6
	v_add_u32_sdwa v0, v0, v4 dst_sel:DWORD dst_unused:UNUSED_PAD src0_sel:DWORD src1_sel:BYTE_0
	v_add_lshl_u32 v115, v140, v0, 3
	s_waitcnt vmcnt(6)
	v_pk_mul_f32 v[78:79], v[78:79], v[104:105] op_sel_hi:[0,1]
	v_pk_mul_f32 v[80:81], v[34:35], v[8:9] op_sel:[0,1]
	v_pk_mul_f32 v[82:83], v[66:67], v[106:107] op_sel_hi:[0,1]
	s_waitcnt vmcnt(5)
	v_pk_mul_f32 v[74:75], v[74:75], v[98:99] op_sel_hi:[0,1]
	v_pk_mul_f32 v[76:77], v[76:77], v[100:101] op_sel_hi:[0,1]
	v_pk_fma_f32 v[84:85], v[34:35], v[8:9], v[80:81] op_sel:[0,0,1] op_sel_hi:[1,1,0] neg_lo:[0,0,1] neg_hi:[0,0,1]
	v_pk_fma_f32 v[80:81], v[34:35], v[8:9], v[80:81] op_sel:[0,0,1] op_sel_hi:[1,0,0]
	v_pk_fma_f32 v[34:35], v[62:63], v[104:105], v[78:79] op_sel:[0,0,1] op_sel_hi:[1,1,0] neg_lo:[0,0,1] neg_hi:[0,0,1]
	v_pk_fma_f32 v[62:63], v[62:63], v[104:105], v[78:79] op_sel:[0,0,1] op_sel_hi:[0,1,0]
	;; [unrolled: 2-line block ×5, first 2 shown]
	v_mov_b32_e32 v35, v63
	v_mov_b32_e32 v67, v79
	v_mov_b32_e32 v69, v75
	v_mov_b32_e32 v71, v73
	v_mov_b32_e32 v85, v81
	v_pk_add_f32 v[76:77], v[66:67], v[34:35] neg_lo:[0,1] neg_hi:[0,1]
	v_pk_add_f32 v[78:79], v[68:69], v[70:71] neg_lo:[0,1] neg_hi:[0,1]
	v_pk_add_f32 v[80:81], v[66:67], v[68:69]
	v_pk_add_f32 v[62:63], v[34:35], v[70:71] neg_lo:[0,1] neg_hi:[0,1]
	v_pk_add_f32 v[74:75], v[34:35], v[70:71]
	v_pk_add_f32 v[82:83], v[34:35], v[66:67] neg_lo:[0,1] neg_hi:[0,1]
	v_pk_add_f32 v[86:87], v[70:71], v[68:69] neg_lo:[0,1] neg_hi:[0,1]
	v_pk_add_f32 v[76:77], v[76:77], v[78:79]
	v_pk_fma_f32 v[78:79], v[80:81], 0.5, v[60:61] op_sel_hi:[1,0,1] neg_lo:[1,0,0] neg_hi:[1,0,0]
	v_pk_add_f32 v[72:73], v[66:67], v[68:69] neg_lo:[0,1] neg_hi:[0,1]
	v_pk_fma_f32 v[74:75], v[74:75], 0.5, v[60:61] op_sel_hi:[1,0,1] neg_lo:[1,0,0] neg_hi:[1,0,0]
	v_pk_add_f32 v[80:81], v[82:83], v[86:87]
	v_pk_fma_f32 v[86:87], v[62:63], s[14:15], v[78:79] op_sel:[1,0,0] op_sel_hi:[0,0,1] neg_lo:[1,0,0] neg_hi:[1,0,0]
	v_pk_fma_f32 v[78:79], v[62:63], s[14:15], v[78:79] op_sel:[1,0,0] op_sel_hi:[0,0,1]
	v_pk_fma_f32 v[82:83], v[72:73], s[14:15], v[74:75] op_sel:[1,0,0] op_sel_hi:[0,0,1] neg_lo:[1,0,0] neg_hi:[1,0,0]
	v_pk_fma_f32 v[74:75], v[72:73], s[14:15], v[74:75] op_sel:[1,0,0] op_sel_hi:[0,0,1]
	v_pk_fma_f32 v[78:79], v[72:73], s[16:17], v[78:79] op_sel:[1,0,0] op_sel_hi:[0,0,1]
	v_pk_fma_f32 v[72:73], v[72:73], s[16:17], v[86:87] op_sel:[1,0,0] op_sel_hi:[0,0,1] neg_lo:[1,0,0] neg_hi:[1,0,0]
	v_pk_fma_f32 v[74:75], v[62:63], s[16:17], v[74:75] op_sel:[1,0,0] op_sel_hi:[0,0,1] neg_lo:[1,0,0] neg_hi:[1,0,0]
	v_pk_fma_f32 v[62:63], v[62:63], s[16:17], v[82:83] op_sel:[1,0,0] op_sel_hi:[0,0,1]
	v_mov_b32_e32 v86, v72
	v_mov_b32_e32 v72, v11
	;; [unrolled: 1-line block ×6, first 2 shown]
	v_pk_mul_f32 v[72:73], v[56:57], v[72:73] op_sel_hi:[1,0]
	v_pk_fma_f32 v[112:113], v[76:77], s[10:11], v[74:75] op_sel_hi:[1,0,1]
	v_pk_fma_f32 v[74:75], v[56:57], v[10:11], v[72:73] op_sel:[0,0,1] op_sel_hi:[1,1,0] neg_lo:[0,0,1] neg_hi:[0,0,1]
	v_pk_fma_f32 v[56:57], v[56:57], v[10:11], v[72:73] op_sel:[0,0,1] op_sel_hi:[1,0,0]
	v_mov_b32_e32 v82, v62
	v_mov_b32_e32 v75, v57
	s_waitcnt vmcnt(4)
	v_pk_mul_f32 v[56:57], v[38:39], v[12:13] op_sel:[0,1]
	v_pk_fma_f32 v[236:237], v[76:77], s[10:11], v[82:83] op_sel_hi:[1,0,1]
	v_pk_fma_f32 v[72:73], v[38:39], v[12:13], v[56:57] op_sel:[0,0,1] op_sel_hi:[1,1,0] neg_lo:[0,0,1] neg_hi:[0,0,1]
	v_pk_fma_f32 v[38:39], v[38:39], v[12:13], v[56:57] op_sel:[0,0,1] op_sel_hi:[1,0,0]
	v_pk_fma_f32 v[62:63], v[80:81], s[10:11], v[78:79] op_sel_hi:[1,0,1]
	v_mov_b32_e32 v38, v15
	v_mov_b32_e32 v73, v39
	v_pk_mul_f32 v[38:39], v[52:53], v[38:39] op_sel_hi:[1,0]
	v_pk_fma_f32 v[108:109], v[80:81], s[10:11], v[86:87] op_sel_hi:[1,0,1]
	v_pk_fma_f32 v[56:57], v[52:53], v[14:15], v[38:39] op_sel:[0,0,1] op_sel_hi:[1,1,0] neg_lo:[0,0,1] neg_hi:[0,0,1]
	v_pk_fma_f32 v[38:39], v[52:53], v[14:15], v[38:39] op_sel:[0,0,1] op_sel_hi:[1,0,0]
	v_pk_add_f32 v[52:53], v[74:75], v[72:73]
	v_mov_b32_e32 v57, v39
	v_pk_add_f32 v[76:77], v[84:85], v[56:57] neg_lo:[0,1] neg_hi:[0,1]
	v_pk_fma_f32 v[52:53], v[52:53], 0.5, v[48:49] op_sel_hi:[1,0,1] neg_lo:[1,0,0] neg_hi:[1,0,0]
	v_pk_mul_f32 v[78:79], v[76:77], s[14:15] op_sel_hi:[1,0]
	v_pk_add_f32 v[80:81], v[74:75], v[72:73] neg_lo:[0,1] neg_hi:[0,1]
	v_pk_add_f32 v[86:87], v[84:85], v[74:75] neg_lo:[0,1] neg_hi:[0,1]
	v_pk_add_f32 v[88:89], v[56:57], v[72:73] neg_lo:[0,1] neg_hi:[0,1]
	v_pk_add_f32 v[38:39], v[48:49], v[84:85]
	v_pk_mul_f32 v[82:83], v[80:81], s[16:17] op_sel_hi:[1,0]
	v_pk_add_f32 v[86:87], v[86:87], v[88:89]
	v_pk_add_f32 v[88:89], v[52:53], v[78:79] op_sel:[0,1] op_sel_hi:[1,0]
	v_pk_add_f32 v[52:53], v[52:53], v[78:79] op_sel:[0,1] op_sel_hi:[1,0] neg_lo:[0,1] neg_hi:[0,1]
	v_pk_add_f32 v[38:39], v[38:39], v[74:75]
	v_pk_add_f32 v[52:53], v[52:53], v[82:83] op_sel:[0,1] op_sel_hi:[1,0] neg_lo:[0,1] neg_hi:[0,1]
	v_pk_add_f32 v[78:79], v[88:89], v[82:83] op_sel:[0,1] op_sel_hi:[1,0]
	v_pk_add_f32 v[38:39], v[38:39], v[72:73]
	v_mov_b32_e32 v82, v78
	v_mov_b32_e32 v83, v53
	v_pk_add_f32 v[38:39], v[38:39], v[56:57]
	v_pk_fma_f32 v[82:83], v[86:87], s[10:11], v[82:83] op_sel_hi:[1,0,1]
	ds_write2_b64 v103, v[38:39], v[82:83] offset1:17
	v_pk_add_f32 v[38:39], v[84:85], v[56:57]
	v_pk_add_f32 v[56:57], v[72:73], v[56:57] neg_lo:[0,1] neg_hi:[0,1]
	v_pk_fma_f32 v[38:39], v[38:39], 0.5, v[48:49] op_sel_hi:[1,0,1] neg_lo:[1,0,0] neg_hi:[1,0,0]
	v_pk_add_f32 v[48:49], v[74:75], v[84:85] neg_lo:[0,1] neg_hi:[0,1]
	v_pk_mul_f32 v[72:73], v[76:77], s[16:17] op_sel_hi:[1,0]
	v_pk_add_f32 v[48:49], v[48:49], v[56:57]
	v_pk_mul_f32 v[56:57], v[80:81], s[14:15] op_sel_hi:[1,0]
	v_mov_b32_e32 v53, v79
	v_pk_add_f32 v[74:75], v[38:39], v[56:57] op_sel:[0,1] op_sel_hi:[1,0] neg_lo:[0,1] neg_hi:[0,1]
	v_pk_add_f32 v[38:39], v[38:39], v[56:57] op_sel:[0,1] op_sel_hi:[1,0]
	v_pk_add_f32 v[56:57], v[74:75], v[72:73] op_sel:[0,1] op_sel_hi:[1,0]
	v_pk_add_f32 v[38:39], v[38:39], v[72:73] op_sel:[0,1] op_sel_hi:[1,0] neg_lo:[0,1] neg_hi:[0,1]
	v_mov_b32_e32 v72, v56
	v_mov_b32_e32 v73, v39
	;; [unrolled: 1-line block ×3, first 2 shown]
	v_pk_fma_f32 v[72:73], v[48:49], s[10:11], v[72:73] op_sel_hi:[1,0,1]
	v_pk_fma_f32 v[38:39], v[48:49], s[10:11], v[38:39] op_sel_hi:[1,0,1]
	ds_write2_b64 v103, v[72:73], v[38:39] offset0:34 offset1:51
	v_pk_fma_f32 v[38:39], v[86:87], s[10:11], v[52:53] op_sel_hi:[1,0,1]
	ds_write_b64 v103, v[38:39] offset:544
	s_waitcnt vmcnt(2)
	v_pk_mul_f32 v[38:39], v[44:45], v[28:29] op_sel:[0,1]
	s_nop 0
	v_pk_fma_f32 v[48:49], v[44:45], v[28:29], v[38:39] op_sel:[0,0,1] op_sel_hi:[1,1,0] neg_lo:[0,0,1] neg_hi:[0,0,1]
	v_pk_fma_f32 v[38:39], v[44:45], v[28:29], v[38:39] op_sel:[0,0,1] op_sel_hi:[1,0,0]
	s_nop 0
	v_mov_b32_e32 v38, v31
	v_mov_b32_e32 v49, v39
	v_pk_mul_f32 v[38:39], v[58:59], v[38:39] op_sel_hi:[1,0]
	s_nop 0
	v_pk_fma_f32 v[44:45], v[58:59], v[30:31], v[38:39] op_sel:[0,0,1] op_sel_hi:[1,1,0] neg_lo:[0,0,1] neg_hi:[0,0,1]
	v_pk_fma_f32 v[38:39], v[58:59], v[30:31], v[38:39] op_sel:[0,0,1] op_sel_hi:[1,0,0]
	s_nop 0
	v_mov_b32_e32 v45, v39
	v_pk_mul_f32 v[38:39], v[40:41], v[20:21] op_sel:[0,1]
	v_pk_add_f32 v[76:77], v[48:49], v[44:45] neg_lo:[0,1] neg_hi:[0,1]
	v_pk_fma_f32 v[52:53], v[40:41], v[20:21], v[38:39] op_sel:[0,0,1] op_sel_hi:[1,1,0] neg_lo:[0,0,1] neg_hi:[0,0,1]
	v_pk_fma_f32 v[38:39], v[40:41], v[20:21], v[38:39] op_sel:[0,0,1] op_sel_hi:[1,0,0]
	s_nop 0
	v_mov_b32_e32 v38, v23
	v_mov_b32_e32 v53, v39
	v_pk_mul_f32 v[38:39], v[54:55], v[38:39] op_sel_hi:[1,0]
	v_pk_add_f32 v[72:73], v[44:45], v[52:53] neg_lo:[0,1] neg_hi:[0,1]
	v_pk_fma_f32 v[40:41], v[54:55], v[22:23], v[38:39] op_sel:[0,0,1] op_sel_hi:[1,1,0] neg_lo:[0,0,1] neg_hi:[0,0,1]
	v_pk_fma_f32 v[38:39], v[54:55], v[22:23], v[38:39] op_sel:[0,0,1] op_sel_hi:[1,0,0]
	v_pk_add_f32 v[54:55], v[44:45], v[52:53]
	v_mov_b32_e32 v41, v39
	v_pk_add_f32 v[56:57], v[48:49], v[40:41] neg_lo:[0,1] neg_hi:[0,1]
	v_pk_fma_f32 v[54:55], v[54:55], 0.5, v[50:51] op_sel_hi:[1,0,1] neg_lo:[1,0,0] neg_hi:[1,0,0]
	v_pk_mul_f32 v[58:59], v[56:57], s[14:15] op_sel_hi:[1,0]
	v_pk_add_f32 v[78:79], v[40:41], v[52:53] neg_lo:[0,1] neg_hi:[0,1]
	v_pk_add_f32 v[38:39], v[50:51], v[48:49]
	v_pk_mul_f32 v[74:75], v[72:73], s[16:17] op_sel_hi:[1,0]
	v_pk_add_f32 v[76:77], v[76:77], v[78:79]
	v_pk_add_f32 v[78:79], v[54:55], v[58:59] op_sel:[0,1] op_sel_hi:[1,0]
	v_pk_add_f32 v[54:55], v[54:55], v[58:59] op_sel:[0,1] op_sel_hi:[1,0] neg_lo:[0,1] neg_hi:[0,1]
	v_pk_add_f32 v[38:39], v[38:39], v[44:45]
	v_pk_add_f32 v[54:55], v[54:55], v[74:75] op_sel:[0,1] op_sel_hi:[1,0] neg_lo:[0,1] neg_hi:[0,1]
	v_pk_add_f32 v[58:59], v[78:79], v[74:75] op_sel:[0,1] op_sel_hi:[1,0]
	v_pk_add_f32 v[38:39], v[38:39], v[52:53]
	v_mov_b32_e32 v74, v58
	v_mov_b32_e32 v75, v55
	v_pk_add_f32 v[38:39], v[38:39], v[40:41]
	v_pk_fma_f32 v[74:75], v[76:77], s[10:11], v[74:75] op_sel_hi:[1,0,1]
	ds_write2_b64 v111, v[38:39], v[74:75] offset1:17
	v_pk_add_f32 v[38:39], v[48:49], v[40:41]
	v_pk_add_f32 v[44:45], v[44:45], v[48:49] neg_lo:[0,1] neg_hi:[0,1]
	v_pk_add_f32 v[40:41], v[52:53], v[40:41] neg_lo:[0,1] neg_hi:[0,1]
	v_pk_fma_f32 v[38:39], v[38:39], 0.5, v[50:51] op_sel_hi:[1,0,1] neg_lo:[1,0,0] neg_hi:[1,0,0]
	v_pk_add_f32 v[40:41], v[44:45], v[40:41]
	v_pk_mul_f32 v[44:45], v[72:73], s[14:15] op_sel_hi:[1,0]
	v_pk_mul_f32 v[48:49], v[56:57], s[16:17] op_sel_hi:[1,0]
	v_pk_add_f32 v[50:51], v[38:39], v[44:45] op_sel:[0,1] op_sel_hi:[1,0] neg_lo:[0,1] neg_hi:[0,1]
	v_pk_add_f32 v[38:39], v[38:39], v[44:45] op_sel:[0,1] op_sel_hi:[1,0]
	v_pk_add_f32 v[44:45], v[50:51], v[48:49] op_sel:[0,1] op_sel_hi:[1,0]
	v_pk_add_f32 v[38:39], v[38:39], v[48:49] op_sel:[0,1] op_sel_hi:[1,0] neg_lo:[0,1] neg_hi:[0,1]
	v_mov_b32_e32 v48, v44
	v_mov_b32_e32 v49, v39
	;; [unrolled: 1-line block ×3, first 2 shown]
	v_pk_fma_f32 v[48:49], v[40:41], s[10:11], v[48:49] op_sel_hi:[1,0,1]
	v_pk_fma_f32 v[38:39], v[40:41], s[10:11], v[38:39] op_sel_hi:[1,0,1]
	v_mov_b32_e32 v55, v59
	ds_write2_b64 v111, v[48:49], v[38:39] offset0:34 offset1:51
	v_pk_fma_f32 v[38:39], v[76:77], s[10:11], v[54:55] op_sel_hi:[1,0,1]
	ds_write_b64 v111, v[38:39] offset:544
	s_waitcnt vmcnt(0)
	v_pk_mul_f32 v[38:39], v[46:47], v[24:25] op_sel:[0,1]
	s_nop 0
	v_pk_fma_f32 v[40:41], v[46:47], v[24:25], v[38:39] op_sel:[0,0,1] op_sel_hi:[1,1,0] neg_lo:[0,0,1] neg_hi:[0,0,1]
	v_pk_fma_f32 v[38:39], v[46:47], v[24:25], v[38:39] op_sel:[0,0,1] op_sel_hi:[1,0,0]
	s_nop 0
	v_mov_b32_e32 v38, v27
	v_mov_b32_e32 v41, v39
	v_pk_mul_f32 v[38:39], v[36:37], v[38:39] op_sel_hi:[1,0]
	s_nop 0
	v_pk_fma_f32 v[44:45], v[36:37], v[26:27], v[38:39] op_sel:[0,0,1] op_sel_hi:[1,1,0] neg_lo:[0,0,1] neg_hi:[0,0,1]
	v_pk_fma_f32 v[36:37], v[36:37], v[26:27], v[38:39] op_sel:[0,0,1] op_sel_hi:[1,0,0]
	s_nop 0
	v_mov_b32_e32 v45, v37
	v_pk_mul_f32 v[36:37], v[42:43], v[16:17] op_sel:[0,1]
	v_pk_add_f32 v[56:57], v[40:41], v[44:45] neg_lo:[0,1] neg_hi:[0,1]
	v_pk_fma_f32 v[38:39], v[42:43], v[16:17], v[36:37] op_sel:[0,0,1] op_sel_hi:[1,1,0] neg_lo:[0,0,1] neg_hi:[0,0,1]
	v_pk_fma_f32 v[36:37], v[42:43], v[16:17], v[36:37] op_sel:[0,0,1] op_sel_hi:[1,0,0]
	s_nop 0
	v_mov_b32_e32 v36, v19
	v_mov_b32_e32 v39, v37
	v_pk_mul_f32 v[36:37], v[64:65], v[36:37] op_sel_hi:[1,0]
	v_pk_add_f32 v[46:47], v[44:45], v[38:39]
	v_pk_fma_f32 v[42:43], v[64:65], v[18:19], v[36:37] op_sel:[0,0,1] op_sel_hi:[1,1,0] neg_lo:[0,0,1] neg_hi:[0,0,1]
	v_pk_fma_f32 v[36:37], v[64:65], v[18:19], v[36:37] op_sel:[0,0,1] op_sel_hi:[1,0,0]
	v_pk_fma_f32 v[46:47], v[46:47], 0.5, v[32:33] op_sel_hi:[1,0,1] neg_lo:[1,0,0] neg_hi:[1,0,0]
	v_mov_b32_e32 v43, v37
	v_pk_add_f32 v[48:49], v[40:41], v[42:43] neg_lo:[0,1] neg_hi:[0,1]
	v_pk_add_f32 v[52:53], v[44:45], v[38:39] neg_lo:[0,1] neg_hi:[0,1]
	v_pk_mul_f32 v[50:51], v[48:49], s[14:15] op_sel_hi:[1,0]
	v_pk_add_f32 v[58:59], v[42:43], v[38:39] neg_lo:[0,1] neg_hi:[0,1]
	v_pk_add_f32 v[36:37], v[32:33], v[40:41]
	v_pk_mul_f32 v[54:55], v[52:53], s[16:17] op_sel_hi:[1,0]
	v_pk_add_f32 v[56:57], v[56:57], v[58:59]
	v_pk_add_f32 v[58:59], v[46:47], v[50:51] op_sel:[0,1] op_sel_hi:[1,0]
	v_pk_add_f32 v[46:47], v[46:47], v[50:51] op_sel:[0,1] op_sel_hi:[1,0] neg_lo:[0,1] neg_hi:[0,1]
	v_pk_add_f32 v[36:37], v[36:37], v[44:45]
	v_pk_add_f32 v[46:47], v[46:47], v[54:55] op_sel:[0,1] op_sel_hi:[1,0] neg_lo:[0,1] neg_hi:[0,1]
	v_pk_add_f32 v[50:51], v[58:59], v[54:55] op_sel:[0,1] op_sel_hi:[1,0]
	v_pk_add_f32 v[36:37], v[36:37], v[38:39]
	v_mov_b32_e32 v54, v50
	v_mov_b32_e32 v55, v47
	v_pk_add_f32 v[36:37], v[36:37], v[42:43]
	v_pk_fma_f32 v[54:55], v[56:57], s[10:11], v[54:55] op_sel_hi:[1,0,1]
	ds_write2_b64 v115, v[36:37], v[54:55] offset1:17
	v_pk_add_f32 v[36:37], v[40:41], v[42:43]
	v_pk_add_f32 v[38:39], v[38:39], v[42:43] neg_lo:[0,1] neg_hi:[0,1]
	v_pk_fma_f32 v[32:33], v[36:37], 0.5, v[32:33] op_sel_hi:[1,0,1] neg_lo:[1,0,0] neg_hi:[1,0,0]
	v_pk_add_f32 v[36:37], v[44:45], v[40:41] neg_lo:[0,1] neg_hi:[0,1]
	v_pk_mul_f32 v[40:41], v[48:49], s[16:17] op_sel_hi:[1,0]
	v_pk_add_f32 v[36:37], v[36:37], v[38:39]
	v_pk_mul_f32 v[38:39], v[52:53], s[14:15] op_sel_hi:[1,0]
	v_mov_b32_e32 v47, v51
	v_pk_add_f32 v[42:43], v[32:33], v[38:39] op_sel:[0,1] op_sel_hi:[1,0] neg_lo:[0,1] neg_hi:[0,1]
	v_pk_add_f32 v[32:33], v[32:33], v[38:39] op_sel:[0,1] op_sel_hi:[1,0]
	v_pk_add_f32 v[38:39], v[42:43], v[40:41] op_sel:[0,1] op_sel_hi:[1,0]
	v_pk_add_f32 v[32:33], v[32:33], v[40:41] op_sel:[0,1] op_sel_hi:[1,0] neg_lo:[0,1] neg_hi:[0,1]
	v_mov_b32_e32 v40, v38
	v_mov_b32_e32 v41, v33
	;; [unrolled: 1-line block ×3, first 2 shown]
	v_pk_fma_f32 v[40:41], v[36:37], s[10:11], v[40:41] op_sel_hi:[1,0,1]
	v_pk_fma_f32 v[32:33], v[36:37], s[10:11], v[32:33] op_sel_hi:[1,0,1]
	ds_write2_b64 v115, v[40:41], v[32:33] offset0:34 offset1:51
	v_pk_fma_f32 v[32:33], v[56:57], s[10:11], v[46:47] op_sel_hi:[1,0,1]
	ds_write_b64 v115, v[32:33] offset:544
	s_and_saveexec_b64 s[10:11], s[0:1]
	s_cbranch_execz .LBB0_11
; %bb.10:
	v_pk_add_f32 v[32:33], v[60:61], v[34:35]
	v_add_lshl_u32 v0, v140, v102, 3
	v_pk_add_f32 v[32:33], v[32:33], v[66:67]
	v_add_u32_e32 v1, 0x2400, v0
	v_pk_add_f32 v[32:33], v[32:33], v[68:69]
	s_nop 0
	v_pk_add_f32 v[32:33], v[32:33], v[70:71]
	ds_write2_b64 v1, v[32:33], v[62:63] offset0:123 offset1:140
	v_add_u32_e32 v1, 0x2800, v0
	ds_write2_b64 v1, v[236:237], v[112:113] offset0:29 offset1:46
	ds_write_b64 v0, v[108:109] offset:10744
.LBB0_11:
	s_or_b64 exec, exec, s[10:11]
	s_movk_i32 s10, 0x78
	v_mov_b64_e32 v[32:33], s[2:3]
	v_mad_u64_u32 v[60:61], s[2:3], v230, s10, v[32:33]
	s_waitcnt lgkmcnt(0)
	s_barrier
	global_load_dwordx4 v[40:43], v[60:61], off offset:560
	global_load_dwordx4 v[44:47], v[60:61], off offset:544
	;; [unrolled: 1-line block ×7, first 2 shown]
	global_load_dwordx2 v[238:239], v[60:61], off offset:656
	ds_read2_b64 v[64:67], v97 offset1:85
	v_add_u32_e32 v0, 0x400, v97
	v_add_u32_e32 v1, 0x800, v97
	;; [unrolled: 1-line block ×6, first 2 shown]
	ds_read_b64 v[60:61], v97 offset:1360
	ds_read_b64 v[122:123], v97 offset:10200
	ds_read2_b64 v[68:71], v0 offset0:127 offset1:212
	ds_read2_b64 v[72:75], v1 offset0:169 offset1:254
	;; [unrolled: 1-line block ×6, first 2 shown]
	s_waitcnt lgkmcnt(8)
	v_mov_b32_e32 v124, v66
	v_mov_b32_e32 v118, v67
	v_mov_b32_e32 v127, v67
	s_waitcnt lgkmcnt(7)
	v_mov_b32_e32 v128, v60
	v_mov_b32_e32 v120, v61
	v_mov_b32_e32 v67, v61
	;; [unrolled: 4-line block ×3, first 2 shown]
	v_mov_b32_e32 v121, v75
	v_mov_b32_e32 v66, v75
	v_mov_b32_e32 v75, v60
	v_mov_b32_e32 v110, v69
	v_mov_b32_e32 v125, v72
	v_mov_b32_e32 v129, v74
	s_waitcnt lgkmcnt(0)
	v_mov_b32_e32 v152, v89
	v_mov_b32_e32 v153, v81
	;; [unrolled: 1-line block ×4, first 2 shown]
	s_mov_b32 s10, 0x3f3504f3
	s_mov_b32 s14, 0x3f6c835e
	;; [unrolled: 1-line block ×3, first 2 shown]
	v_lshl_add_u32 v96, v230, 3, v227
	s_movk_i32 s2, 0x1000
	s_movk_i32 s16, 0x2000
	v_add_u32_e32 v117, 0x2000, v96
	s_waitcnt vmcnt(7)
	v_pk_mul_f32 v[60:61], v[68:69], v[40:41]
	s_waitcnt vmcnt(6)
	v_mov_b32_e32 v132, v45
	s_waitcnt vmcnt(5)
	v_mov_b32_e32 v133, v93
	;; [unrolled: 2-line block ×3, first 2 shown]
	v_pk_mul_f32 v[148:149], v[76:77], v[32:33] op_sel:[1,0] op_sel_hi:[0,1]
	v_mov_b32_e32 v114, v41
	v_mov_b32_e32 v136, v93
	v_mov_b32_e32 v137, v45
	v_mov_b32_e32 v140, v47
	v_mov_b32_e32 v141, v95
	v_mov_b32_e32 v144, v95
	v_mov_b32_e32 v145, v47
	s_waitcnt vmcnt(3)
	v_mov_b32_e32 v148, v53
	v_mov_b32_e32 v61, v60
	v_pk_mul_f32 v[132:133], v[118:119], v[132:133]
	v_pk_mul_f32 v[118:119], v[76:77], v[146:147] op_sel:[1,0] op_sel_hi:[0,1]
	v_mov_b32_e32 v60, v149
	v_pk_mul_f32 v[150:151], v[68:69], v[114:115]
	v_pk_mul_f32 v[72:73], v[72:73], v[136:137]
	;; [unrolled: 1-line block ×4, first 2 shown]
	v_pk_mul_f32 v[120:121], v[84:85], v[148:149] op_sel:[1,0] op_sel_hi:[0,1]
	v_pk_fma_f32 v[68:69], v[68:69], v[40:41], v[60:61] neg_lo:[1,0,0] neg_hi:[1,0,0]
	v_pk_fma_f32 v[144:145], v[76:77], v[32:33], v[118:119] neg_lo:[0,0,1] neg_hi:[0,0,1]
	v_pk_fma_f32 v[60:61], v[76:77], v[32:33], v[60:61] op_sel:[1,0,0] op_sel_hi:[0,1,1]
	v_pk_mul_f32 v[118:119], v[84:85], v[52:53] op_sel:[1,0] op_sel_hi:[0,1]
	v_pk_fma_f32 v[76:77], v[84:85], v[52:53], v[120:121] neg_lo:[0,0,1] neg_hi:[0,0,1]
	v_mov_b32_e32 v61, v118
	v_mov_b32_e32 v146, v80
	;; [unrolled: 1-line block ×4, first 2 shown]
	s_waitcnt vmcnt(2)
	v_mov_b32_e32 v120, v57
	s_waitcnt vmcnt(1)
	v_mov_b32_e32 v121, v49
	v_mov_b32_e32 v89, v80
	;; [unrolled: 1-line block ×4, first 2 shown]
	v_pk_fma_f32 v[140:141], v[110:111], v[40:41], v[150:151]
	v_mov_b32_e32 v147, v88
	v_pk_mul_f32 v[150:151], v[118:119], v[120:121]
	v_pk_mul_f32 v[80:81], v[88:89], v[80:81]
	v_mov_b32_e32 v88, v82
	v_mov_b32_e32 v118, v83
	;; [unrolled: 1-line block ×6, first 2 shown]
	s_waitcnt vmcnt(0)
	v_mov_b32_e32 v68, v239
	v_pk_mul_f32 v[164:165], v[122:123], v[238:239] op_sel:[1,0] op_sel_hi:[0,1]
	v_mov_b32_e32 v89, v90
	v_pk_mul_f32 v[82:83], v[90:91], v[82:83]
	v_pk_mul_f32 v[90:91], v[122:123], v[68:69] op_sel:[1,0] op_sel_hi:[0,1]
	v_mov_b32_e32 v68, v165
	v_pk_fma_f32 v[90:91], v[122:123], v[238:239], v[90:91] neg_lo:[0,0,1] neg_hi:[0,0,1]
	v_pk_fma_f32 v[122:123], v[122:123], v[238:239], v[68:69] op_sel:[1,0,0] op_sel_hi:[0,1,1]
	v_mov_b32_e32 v68, v43
	v_mov_b32_e32 v142, v94
	;; [unrolled: 1-line block ×3, first 2 shown]
	v_pk_mul_f32 v[164:165], v[70:71], v[68:69] op_sel_hi:[1,0]
	v_mov_b32_e32 v68, v35
	v_mov_b32_e32 v134, v92
	;; [unrolled: 1-line block ×3, first 2 shown]
	v_pk_fma_f32 v[66:67], v[66:67], v[142:143], v[74:75]
	v_pk_mul_f32 v[74:75], v[78:79], v[68:69] op_sel_hi:[1,0]
	v_mov_b32_e32 v158, v59
	v_mov_b32_e32 v159, v51
	v_pk_fma_f32 v[72:73], v[126:127], v[134:135], v[72:73]
	v_pk_fma_f32 v[126:127], v[78:79], v[34:35], v[74:75] op_sel:[0,0,1] op_sel_hi:[1,1,0] neg_lo:[0,0,1] neg_hi:[0,0,1]
	v_pk_fma_f32 v[74:75], v[78:79], v[34:35], v[74:75] op_sel:[0,0,1] op_sel_hi:[1,0,0]
	v_mov_b32_e32 v68, v55
	v_mov_b32_e32 v130, v44
	;; [unrolled: 1-line block ×7, first 2 shown]
	v_pk_mul_f32 v[158:159], v[118:119], v[158:159]
	v_mov_b32_e32 v162, v50
	v_mov_b32_e32 v163, v58
	v_pk_fma_f32 v[166:167], v[70:71], v[42:43], v[164:165] op_sel:[1,0,0] op_sel_hi:[0,1,1]
	v_pk_fma_f32 v[70:71], v[70:71], v[42:43], v[164:165] op_sel:[1,0,0] op_sel_hi:[0,0,1] neg_lo:[0,0,1] neg_hi:[0,0,1]
	v_mov_b32_e32 v127, v75
	v_pk_mul_f32 v[74:75], v[86:87], v[68:69] op_sel_hi:[1,0]
	v_mov_b32_e32 v148, v56
	v_mov_b32_e32 v149, v48
	;; [unrolled: 1-line block ×5, first 2 shown]
	v_pk_fma_f32 v[70:71], v[124:125], v[130:131], v[132:133] neg_lo:[0,0,1] neg_hi:[0,0,1]
	v_pk_fma_f32 v[124:125], v[128:129], v[138:139], v[136:137] neg_lo:[0,0,1] neg_hi:[0,0,1]
	v_pk_fma_f32 v[78:79], v[86:87], v[54:55], v[74:75] op_sel:[1,0,0] op_sel_hi:[0,1,1]
	v_pk_fma_f32 v[74:75], v[86:87], v[54:55], v[74:75] op_sel:[1,0,0] op_sel_hi:[0,0,1] neg_lo:[0,0,1] neg_hi:[0,0,1]
	v_pk_fma_f32 v[86:87], v[88:89], v[156:157], v[158:159] neg_lo:[0,0,1] neg_hi:[0,0,1]
	v_pk_fma_f32 v[82:83], v[160:161], v[162:163], v[82:83]
	v_mov_b32_e32 v79, v75
	v_pk_fma_f32 v[74:75], v[146:147], v[148:149], v[150:151] neg_lo:[0,0,1] neg_hi:[0,0,1]
	v_pk_fma_f32 v[80:81], v[152:153], v[154:155], v[80:81]
	v_pk_add_f32 v[86:87], v[124:125], v[86:87] neg_lo:[0,1] neg_hi:[0,1]
	v_pk_add_f32 v[82:83], v[66:67], v[82:83] neg_lo:[0,1] neg_hi:[0,1]
	v_pk_fma_f32 v[84:85], v[84:85], v[52:53], v[60:61] op_sel:[1,0,0] op_sel_hi:[0,1,1]
	v_mov_b32_e32 v128, v67
	v_mov_b32_e32 v129, v124
	;; [unrolled: 1-line block ×5, first 2 shown]
	v_pk_add_f32 v[74:75], v[70:71], v[74:75] neg_lo:[0,1] neg_hi:[0,1]
	v_pk_add_f32 v[80:81], v[72:73], v[80:81] neg_lo:[0,1] neg_hi:[0,1]
	v_pk_fma_f32 v[66:67], v[66:67], 2.0, v[124:125] op_sel_hi:[1,0,1] neg_lo:[0,0,1] neg_hi:[0,0,1]
	v_mov_b32_e32 v124, v70
	v_mov_b32_e32 v125, v73
	;; [unrolled: 1-line block ×12, first 2 shown]
	v_pk_add_f32 v[88:89], v[64:65], v[126:127] neg_lo:[0,1] neg_hi:[0,1]
	v_pk_add_f32 v[78:79], v[166:167], v[78:79] neg_lo:[0,1] neg_hi:[0,1]
	v_pk_fma_f32 v[70:71], v[70:71], 2.0, v[72:73] op_sel_hi:[1,0,1] neg_lo:[0,0,1] neg_hi:[0,0,1]
	v_pk_add_f32 v[68:69], v[68:69], v[76:77] neg_lo:[0,1] neg_hi:[0,1]
	v_pk_add_f32 v[72:73], v[60:61], v[122:123] neg_lo:[0,1] neg_hi:[0,1]
	v_pk_fma_f32 v[64:65], v[64:65], 2.0, v[88:89] op_sel_hi:[1,0,1] neg_lo:[0,0,1] neg_hi:[0,0,1]
	v_pk_fma_f32 v[126:127], v[166:167], 2.0, v[78:79] op_sel_hi:[1,0,1] neg_lo:[0,0,1] neg_hi:[0,0,1]
	v_mov_b32_e32 v130, v83
	v_mov_b32_e32 v131, v86
	v_mov_b32_e32 v61, v144
	v_mov_b32_e32 v84, v72
	v_mov_b32_e32 v85, v69
	v_pk_fma_f32 v[128:129], v[128:129], 2.0, v[130:131] op_sel_hi:[1,0,1] neg_lo:[0,0,1] neg_hi:[0,0,1]
	v_mov_b32_e32 v130, v74
	v_mov_b32_e32 v131, v81
	v_pk_fma_f32 v[60:61], v[60:61], 2.0, v[84:85] op_sel_hi:[1,0,1] neg_lo:[0,0,1] neg_hi:[0,0,1]
	v_pk_add_f32 v[84:85], v[64:65], v[126:127] op_sel:[0,1] op_sel_hi:[1,0] neg_lo:[0,1] neg_hi:[0,1]
	v_pk_add_f32 v[90:91], v[88:89], v[78:79] neg_lo:[0,1] neg_hi:[0,1]
	v_pk_add_f32 v[78:79], v[88:89], v[78:79]
	v_pk_add_f32 v[122:123], v[86:87], v[82:83] neg_lo:[0,1] neg_hi:[0,1]
	v_pk_add_f32 v[126:127], v[86:87], v[82:83]
	v_pk_fma_f32 v[124:125], v[124:125], 2.0, v[130:131] op_sel_hi:[1,0,1] neg_lo:[0,0,1] neg_hi:[0,0,1]
	v_mov_b32_e32 v91, v79
	v_mov_b32_e32 v123, v127
	;; [unrolled: 1-line block ×3, first 2 shown]
	v_pk_fma_f32 v[78:79], v[88:89], 2.0, v[90:91] op_sel_hi:[1,0,1] neg_lo:[0,0,1] neg_hi:[0,0,1]
	v_pk_fma_f32 v[82:83], v[86:87], 2.0, v[122:123] op_sel_hi:[1,0,1] neg_lo:[0,0,1] neg_hi:[0,0,1]
	v_pk_add_f32 v[70:71], v[124:125], v[70:71] neg_lo:[0,1] neg_hi:[0,1]
	v_pk_add_f32 v[126:127], v[68:69], v[72:73]
	v_mov_b32_e32 v76, v73
	v_mov_b32_e32 v77, v68
	v_pk_add_f32 v[66:67], v[128:129], v[66:67] neg_lo:[0,1] neg_hi:[0,1]
	v_pk_fma_f32 v[86:87], v[124:125], 2.0, v[70:71] op_sel_hi:[1,0,1] neg_lo:[0,0,1] neg_hi:[0,0,1]
	v_pk_add_f32 v[124:125], v[74:75], v[80:81] neg_lo:[0,1] neg_hi:[0,1]
	v_pk_add_f32 v[74:75], v[74:75], v[80:81]
	v_pk_add_f32 v[80:81], v[68:69], v[72:73] neg_lo:[0,1] neg_hi:[0,1]
	v_fma_f32 v69, v73, 2.0, -v127
	v_pk_mul_f32 v[72:73], v[82:83], s[10:11] op_sel_hi:[1,0]
	v_pk_fma_f32 v[82:83], v[82:83], s[10:11], v[78:79] op_sel_hi:[1,0,1] neg_lo:[1,0,0] neg_hi:[1,0,0]
	v_pk_fma_f32 v[76:77], v[140:141], 2.0, v[76:77] op_sel_hi:[1,0,1] neg_lo:[0,0,1] neg_hi:[0,0,1]
	v_pk_fma_f32 v[88:89], v[128:129], 2.0, v[66:67] op_sel_hi:[1,0,1] neg_lo:[0,0,1] neg_hi:[0,0,1]
	v_mov_b32_e32 v81, v127
	v_pk_add_f32 v[126:127], v[82:83], v[72:73] op_sel:[0,1] op_sel_hi:[1,0] neg_lo:[0,1] neg_hi:[0,1]
	v_pk_add_f32 v[72:73], v[82:83], v[72:73] op_sel:[0,1] op_sel_hi:[1,0]
	v_pk_add_f32 v[128:129], v[84:85], v[66:67] neg_lo:[0,1] neg_hi:[0,1]
	v_pk_add_f32 v[66:67], v[84:85], v[66:67]
	v_mov_b32_e32 v125, v75
	v_pk_add_f32 v[60:61], v[76:77], v[60:61] neg_lo:[0,1] neg_hi:[0,1]
	v_mov_b32_e32 v127, v73
	v_mov_b32_e32 v129, v67
	v_pk_mul_f32 v[66:67], v[122:123], s[10:11] op_sel_hi:[1,0]
	v_pk_fma_f32 v[72:73], v[122:123], s[10:11], v[90:91] op_sel_hi:[1,0,1]
	v_pk_fma_f32 v[74:75], v[130:131], 2.0, v[124:125] op_sel_hi:[1,0,1] neg_lo:[0,0,1] neg_hi:[0,0,1]
	v_pk_fma_f32 v[76:77], v[76:77], 2.0, v[60:61] op_sel_hi:[1,0,1] neg_lo:[0,0,1] neg_hi:[0,0,1]
	v_fma_f32 v68, v68, 2.0, -v80
	v_pk_add_f32 v[130:131], v[72:73], v[66:67] op_sel:[0,1] op_sel_hi:[1,0] neg_lo:[0,1] neg_hi:[0,1]
	v_pk_add_f32 v[66:67], v[72:73], v[66:67] op_sel:[0,1] op_sel_hi:[1,0]
	v_pk_add_f32 v[76:77], v[86:87], v[76:77] op_sel:[1,0] op_sel_hi:[0,1] neg_lo:[0,1] neg_hi:[0,1]
	v_mov_b32_e32 v131, v67
	v_pk_mul_f32 v[72:73], v[68:69], s[10:11] op_sel_hi:[1,0]
	v_pk_fma_f32 v[68:69], v[68:69], s[10:11], v[74:75] op_sel_hi:[1,0,1] neg_lo:[1,0,0] neg_hi:[1,0,0]
	v_pk_fma_f32 v[64:65], v[64:65], 2.0, v[84:85] op_sel_hi:[1,0,1] neg_lo:[0,0,1] neg_hi:[0,0,1]
	v_pk_fma_f32 v[82:83], v[84:85], 2.0, v[128:129] op_sel_hi:[1,0,1] neg_lo:[0,0,1] neg_hi:[0,0,1]
	;; [unrolled: 1-line block ×3, first 2 shown]
	v_fma_f32 v66, v86, 2.0, -v77
	v_fma_f32 v67, v87, 2.0, -v76
	v_pk_add_f32 v[86:87], v[68:69], v[72:73] op_sel:[0,1] op_sel_hi:[1,0] neg_lo:[0,1] neg_hi:[0,1]
	v_pk_add_f32 v[68:69], v[68:69], v[72:73] op_sel:[0,1] op_sel_hi:[1,0]
	v_pk_add_f32 v[90:91], v[70:71], v[60:61] neg_lo:[0,1] neg_hi:[0,1]
	v_pk_add_f32 v[60:61], v[70:71], v[60:61]
	v_mov_b32_e32 v87, v69
	v_mov_b32_e32 v91, v61
	v_fma_f32 v60, v70, 2.0, -v90
	v_fma_f32 v61, v71, 2.0, -v61
	v_pk_mul_f32 v[68:69], v[80:81], s[10:11] op_sel_hi:[1,0]
	v_pk_fma_f32 v[70:71], v[80:81], s[10:11], v[124:125] op_sel_hi:[1,0,1]
	v_pk_mul_f32 v[72:73], v[60:61], s[10:11] op_sel_hi:[1,0]
	v_pk_add_f32 v[132:133], v[70:71], v[68:69] op_sel:[0,1] op_sel_hi:[1,0] neg_lo:[0,1] neg_hi:[0,1]
	v_pk_add_f32 v[68:69], v[70:71], v[68:69] op_sel:[0,1] op_sel_hi:[1,0]
	v_pk_fma_f32 v[60:61], v[60:61], s[10:11], v[82:83] op_sel_hi:[1,0,1] neg_lo:[1,0,0] neg_hi:[1,0,0]
	v_mov_b32_e32 v133, v69
	v_pk_add_f32 v[88:89], v[64:65], v[88:89] op_sel:[0,1] op_sel_hi:[1,0] neg_lo:[0,1] neg_hi:[0,1]
	v_pk_fma_f32 v[68:69], v[124:125], 2.0, v[132:133] op_sel_hi:[1,0,1] neg_lo:[0,0,1] neg_hi:[0,0,1]
	v_pk_add_f32 v[70:71], v[60:61], v[72:73] op_sel:[0,1] op_sel_hi:[1,0] neg_lo:[0,1] neg_hi:[0,1]
	v_pk_add_f32 v[60:61], v[60:61], v[72:73] op_sel:[0,1] op_sel_hi:[1,0]
	v_fma_f32 v64, v64, 2.0, -v88
	v_fma_f32 v65, v65, 2.0, -v89
	v_mov_b32_e32 v71, v61
	v_pk_fma_f32 v[60:61], v[68:69], s[18:19], v[84:85] op_sel_hi:[1,0,1] neg_lo:[1,0,0] neg_hi:[1,0,0]
	v_pk_mul_f32 v[68:69], v[68:69], s[14:15] op_sel_hi:[1,0]
	v_pk_add_f32 v[66:67], v[64:65], v[66:67] neg_lo:[0,1] neg_hi:[0,1]
	v_pk_add_f32 v[72:73], v[60:61], v[68:69] op_sel:[0,1] op_sel_hi:[1,0] neg_lo:[0,1] neg_hi:[0,1]
	v_pk_add_f32 v[60:61], v[60:61], v[68:69] op_sel:[0,1] op_sel_hi:[1,0]
	v_pk_fma_f32 v[122:123], v[64:65], 2.0, v[66:67] op_sel_hi:[1,0,1] neg_lo:[0,0,1] neg_hi:[0,0,1]
	v_pk_fma_f32 v[64:65], v[74:75], 2.0, v[86:87] op_sel_hi:[1,0,1] neg_lo:[0,0,1] neg_hi:[0,0,1]
	v_mov_b32_e32 v73, v61
	v_pk_add_f32 v[74:75], v[88:89], v[76:77] neg_lo:[0,1] neg_hi:[0,1]
	v_pk_add_f32 v[60:61], v[88:89], v[76:77]
	v_pk_mul_f32 v[68:69], v[86:87], s[14:15] op_sel_hi:[1,0]
	v_mov_b32_e32 v75, v61
	v_pk_fma_f32 v[60:61], v[86:87], s[18:19], v[126:127] op_sel_hi:[1,0,1]
	v_pk_mul_f32 v[80:81], v[64:65], s[18:19] op_sel_hi:[1,0]
	v_pk_add_f32 v[76:77], v[60:61], v[68:69] op_sel:[0,1] op_sel_hi:[1,0] neg_lo:[0,1] neg_hi:[0,1]
	v_pk_add_f32 v[60:61], v[60:61], v[68:69] op_sel:[0,1] op_sel_hi:[1,0]
	v_pk_mul_f32 v[124:125], v[132:133], s[18:19] op_sel_hi:[1,0]
	v_mov_b32_e32 v77, v61
	v_pk_fma_f32 v[60:61], v[78:79], 2.0, v[126:127] op_sel_hi:[1,0,1] neg_lo:[0,0,1] neg_hi:[0,0,1]
	v_mov_b32_e32 v242, v45
	v_pk_fma_f32 v[64:65], v[64:65], s[14:15], v[60:61] op_sel_hi:[1,0,1] neg_lo:[1,0,0] neg_hi:[1,0,0]
	v_mov_b32_e32 v116, v93
	v_pk_add_f32 v[68:69], v[64:65], v[80:81] op_sel:[0,1] op_sel_hi:[1,0] neg_lo:[0,1] neg_hi:[0,1]
	v_pk_add_f32 v[64:65], v[64:65], v[80:81] op_sel:[0,1] op_sel_hi:[1,0]
	v_mov_b32_e32 v244, v47
	v_mov_b32_e32 v69, v65
	v_pk_fma_f32 v[80:81], v[60:61], 2.0, v[68:69] op_sel_hi:[1,0,1] neg_lo:[0,0,1] neg_hi:[0,0,1]
	v_pk_mul_f32 v[60:61], v[90:91], s[10:11] op_sel_hi:[1,0]
	v_pk_fma_f32 v[64:65], v[90:91], s[10:11], v[128:129] op_sel_hi:[1,0,1]
	v_mov_b32_e32 v240, v95
	v_pk_add_f32 v[78:79], v[64:65], v[60:61] op_sel:[0,1] op_sel_hi:[1,0] neg_lo:[0,1] neg_hi:[0,1]
	v_pk_add_f32 v[60:61], v[64:65], v[60:61] op_sel:[0,1] op_sel_hi:[1,0]
	v_pk_fma_f32 v[64:65], v[132:133], s[14:15], v[130:131] op_sel_hi:[1,0,1]
	v_mov_b32_e32 v79, v61
	v_pk_add_f32 v[60:61], v[64:65], v[124:125] op_sel:[0,1] op_sel_hi:[1,0] neg_lo:[0,1] neg_hi:[0,1]
	v_pk_add_f32 v[64:65], v[64:65], v[124:125] op_sel:[0,1] op_sel_hi:[1,0]
	v_mov_b32_e32 v110, v57
	v_mov_b32_e32 v61, v65
	v_mov_b32_e32 v114, v49
	v_mov_b32_e32 v120, v59
	v_mov_b32_e32 v118, v51
	v_pk_fma_f32 v[82:83], v[82:83], 2.0, v[70:71] op_sel_hi:[1,0,1] neg_lo:[0,0,1] neg_hi:[0,0,1]
	v_pk_fma_f32 v[84:85], v[84:85], 2.0, v[72:73] op_sel_hi:[1,0,1] neg_lo:[0,0,1] neg_hi:[0,0,1]
	;; [unrolled: 1-line block ×5, first 2 shown]
	v_add_u32_e32 v126, 0x400, v96
	v_add_u32_e32 v125, 0x800, v96
	v_pk_fma_f32 v[64:65], v[130:131], 2.0, v[60:61] op_sel_hi:[1,0,1] neg_lo:[0,0,1] neg_hi:[0,0,1]
	v_add_u32_e32 v124, 0x1000, v96
	v_add_u32_e32 v121, 0x1400, v96
	v_add_u32_e32 v119, 0x1800, v96
	ds_write_b64 v96, v[122:123]
	ds_write2_b64 v96, v[80:81], v[82:83] offset0:85 offset1:170
	ds_write2_b64 v126, v[84:85], v[86:87] offset0:127 offset1:212
	;; [unrolled: 1-line block ×7, first 2 shown]
	ds_write_b64 v96, v[60:61] offset:10200
	s_waitcnt lgkmcnt(0)
	s_barrier
	s_and_saveexec_b64 s[10:11], vcc
	s_cbranch_execz .LBB0_13
; %bb.12:
	s_add_u32 s14, s8, 0x2a80
	s_addc_u32 s15, s9, 0
	global_load_dwordx2 v[130:131], v232, s[14:15]
	ds_read_b64 v[128:129], v96
	v_mov_b32_e32 v233, 0
	v_lshl_add_u64 v[132:133], s[14:15], 0, v[232:233]
	s_waitcnt vmcnt(0) lgkmcnt(0)
	v_mul_f32_e32 v0, v129, v131
	v_mul_f32_e32 v135, v128, v131
	v_fma_f32 v134, v128, v130, -v0
	v_fmac_f32_e32 v135, v129, v130
	ds_write_b64 v96, v[134:135]
	global_load_dwordx2 v[134:135], v232, s[14:15] offset:640
	ds_read2_b64 v[128:131], v96 offset0:80 offset1:160
	s_waitcnt vmcnt(0) lgkmcnt(0)
	v_mul_f32_e32 v0, v129, v135
	v_mul_f32_e32 v137, v128, v135
	v_fma_f32 v136, v128, v134, -v0
	v_fmac_f32_e32 v137, v129, v134
	global_load_dwordx2 v[128:129], v232, s[14:15] offset:1280
	s_waitcnt vmcnt(0)
	v_mul_f32_e32 v0, v131, v129
	v_mul_f32_e32 v135, v130, v129
	v_fma_f32 v134, v130, v128, -v0
	v_fmac_f32_e32 v135, v131, v128
	ds_write2_b64 v96, v[136:137], v[134:135] offset0:80 offset1:160
	global_load_dwordx2 v[134:135], v232, s[14:15] offset:1920
	ds_read2_b64 v[128:131], v126 offset0:112 offset1:192
	s_waitcnt vmcnt(0) lgkmcnt(0)
	v_mul_f32_e32 v0, v129, v135
	v_mul_f32_e32 v137, v128, v135
	v_fma_f32 v136, v128, v134, -v0
	v_fmac_f32_e32 v137, v129, v134
	global_load_dwordx2 v[128:129], v232, s[14:15] offset:2560
	s_waitcnt vmcnt(0)
	v_mul_f32_e32 v0, v131, v129
	v_mul_f32_e32 v135, v130, v129
	v_fma_f32 v134, v130, v128, -v0
	v_fmac_f32_e32 v135, v131, v128
	global_load_dwordx2 v[130:131], v232, s[14:15] offset:3200
	ds_write2_b64 v126, v[136:137], v[134:135] offset0:112 offset1:192
	ds_read2_b64 v[126:129], v125 offset0:144 offset1:224
	s_waitcnt vmcnt(0) lgkmcnt(0)
	v_mul_f32_e32 v0, v127, v131
	v_mul_f32_e32 v135, v126, v131
	v_fma_f32 v134, v126, v130, -v0
	v_fmac_f32_e32 v135, v127, v130
	global_load_dwordx2 v[126:127], v232, s[14:15] offset:3840
	s_waitcnt vmcnt(0)
	v_mul_f32_e32 v0, v129, v127
	v_mul_f32_e32 v131, v128, v127
	v_fma_f32 v130, v128, v126, -v0
	v_fmac_f32_e32 v131, v129, v126
	ds_write2_b64 v125, v[134:135], v[130:131] offset0:144 offset1:224
	v_add_co_u32_e64 v130, s[2:3], s2, v132
	ds_read2_b64 v[126:129], v124 offset0:48 offset1:128
	s_nop 0
	v_addc_co_u32_e64 v131, s[2:3], 0, v133, s[2:3]
	global_load_dwordx2 v[134:135], v[130:131], off offset:384
	s_waitcnt vmcnt(0) lgkmcnt(0)
	v_mul_f32_e32 v0, v127, v135
	v_fma_f32 v136, v126, v134, -v0
	v_mul_f32_e32 v137, v126, v135
	v_or_b32_e32 v0, 0x1400, v232
	v_fmac_f32_e32 v137, v127, v134
	global_load_dwordx2 v[126:127], v0, s[14:15]
	s_waitcnt vmcnt(0)
	v_mul_f32_e32 v0, v129, v127
	v_mul_f32_e32 v135, v128, v127
	v_fma_f32 v134, v128, v126, -v0
	v_fmac_f32_e32 v135, v129, v126
	global_load_dwordx2 v[128:129], v[130:131], off offset:1664
	ds_write2_b64 v124, v[136:137], v[134:135] offset0:48 offset1:128
	ds_read2_b64 v[124:127], v121 offset0:80 offset1:160
	s_waitcnt vmcnt(0) lgkmcnt(0)
	v_mul_f32_e32 v0, v125, v129
	v_mul_f32_e32 v135, v124, v129
	v_fma_f32 v134, v124, v128, -v0
	v_fmac_f32_e32 v135, v125, v128
	global_load_dwordx2 v[124:125], v[130:131], off offset:2304
	s_waitcnt vmcnt(0)
	v_mul_f32_e32 v0, v127, v125
	v_mul_f32_e32 v129, v126, v125
	v_fma_f32 v128, v126, v124, -v0
	v_fmac_f32_e32 v129, v127, v124
	ds_write2_b64 v121, v[134:135], v[128:129] offset0:80 offset1:160
	global_load_dwordx2 v[128:129], v[130:131], off offset:2944
	ds_read2_b64 v[124:127], v119 offset0:112 offset1:192
	s_waitcnt vmcnt(0) lgkmcnt(0)
	v_mul_f32_e32 v0, v125, v129
	v_mul_f32_e32 v135, v124, v129
	v_fma_f32 v134, v124, v128, -v0
	v_fmac_f32_e32 v135, v125, v128
	global_load_dwordx2 v[124:125], v[130:131], off offset:3584
	s_waitcnt vmcnt(0)
	v_mul_f32_e32 v0, v127, v125
	v_mul_f32_e32 v129, v126, v125
	v_fma_f32 v128, v126, v124, -v0
	v_fmac_f32_e32 v129, v127, v124
	ds_write2_b64 v119, v[134:135], v[128:129] offset0:112 offset1:192
	v_add_co_u32_e64 v128, s[2:3], s16, v132
	ds_read2_b64 v[124:127], v117 offset0:16 offset1:96
	s_nop 0
	v_addc_co_u32_e64 v129, s[2:3], 0, v133, s[2:3]
	global_load_dwordx2 v[130:131], v[128:129], off offset:128
	s_waitcnt vmcnt(0) lgkmcnt(0)
	v_mul_f32_e32 v0, v125, v131
	v_mul_f32_e32 v133, v124, v131
	v_fma_f32 v132, v124, v130, -v0
	v_fmac_f32_e32 v133, v125, v130
	global_load_dwordx2 v[124:125], v[128:129], off offset:768
	s_waitcnt vmcnt(0)
	v_mul_f32_e32 v0, v127, v125
	global_load_dwordx2 v[128:129], v[128:129], off offset:1408
	v_fma_f32 v130, v126, v124, -v0
	v_mul_f32_e32 v131, v126, v125
	v_add_u32_e32 v0, 0x2400, v96
	v_fmac_f32_e32 v131, v127, v124
	ds_read2_b64 v[124:127], v0 offset0:48 offset1:128
	ds_write2_b64 v117, v[132:133], v[130:131] offset0:16 offset1:96
	s_waitcnt vmcnt(0) lgkmcnt(1)
	v_mul_f32_e32 v1, v125, v129
	v_fma_f32 v130, v124, v128, -v1
	v_mul_f32_e32 v131, v124, v129
	v_or_b32_e32 v1, 0x2800, v232
	v_fmac_f32_e32 v131, v125, v128
	global_load_dwordx2 v[124:125], v1, s[14:15]
	s_waitcnt vmcnt(0)
	v_mul_f32_e32 v1, v127, v125
	v_mul_f32_e32 v129, v126, v125
	v_fma_f32 v128, v126, v124, -v1
	v_fmac_f32_e32 v129, v127, v124
	ds_write2_b64 v0, v[130:131], v[128:129] offset0:48 offset1:128
.LBB0_13:
	s_or_b64 exec, exec, s[10:11]
	s_waitcnt lgkmcnt(0)
	s_barrier
	s_and_saveexec_b64 s[2:3], vcc
	s_cbranch_execz .LBB0_15
; %bb.14:
	v_add_u32_e32 v0, 0x400, v96
	ds_read_b64 v[122:123], v96
	ds_read2_b64 v[80:83], v96 offset0:80 offset1:160
	ds_read2_b64 v[84:87], v0 offset0:112 offset1:192
	v_add_u32_e32 v0, 0x800, v96
	ds_read2_b64 v[88:91], v0 offset0:144 offset1:224
	v_add_u32_e32 v0, 0x1000, v96
	;; [unrolled: 2-line block ×6, first 2 shown]
	ds_read2_b64 v[60:63], v0 offset0:48 offset1:128
.LBB0_15:
	s_or_b64 exec, exec, s[2:3]
	s_waitcnt lgkmcnt(0)
	v_pk_add_f32 v[124:125], v[82:83], v[60:61] neg_lo:[0,1] neg_hi:[0,1]
	v_pk_add_f32 v[142:143], v[82:83], v[60:61]
	v_mov_b32_e32 v129, v124
	v_mov_b32_e32 v128, v142
	;; [unrolled: 1-line block ×3, first 2 shown]
	v_pk_add_f32 v[124:125], v[84:85], v[78:79] neg_lo:[0,1] neg_hi:[0,1]
	v_pk_add_f32 v[144:145], v[84:85], v[78:79]
	s_mov_b32 s48, 0xbf2c7751
	v_mov_b32_e32 v130, v144
	v_mov_b32_e32 v131, v124
	;; [unrolled: 1-line block ×3, first 2 shown]
	v_pk_add_f32 v[124:125], v[86:87], v[76:77] neg_lo:[0,1] neg_hi:[0,1]
	v_pk_add_f32 v[148:149], v[86:87], v[76:77]
	v_pk_add_f32 v[150:151], v[80:81], v[62:63] neg_lo:[0,1] neg_hi:[0,1]
	s_mov_b32 s49, 0x3f3d2fb0
	s_mov_b32 s42, 0xbf7ee86f
	v_mov_b32_e32 v132, v148
	v_mov_b32_e32 v133, v124
	;; [unrolled: 1-line block ×3, first 2 shown]
	v_pk_add_f32 v[146:147], v[62:63], v[80:81]
	s_mov_b32 s10, s49
	v_pk_mul_f32 v[124:125], v[150:151], s[48:49] op_sel_hi:[1,0]
	s_mov_b32 s43, 0x3dbcf732
	v_pk_mul_f32 v[168:169], v[142:143], s[42:43]
	s_mov_b32 s2, s43
	s_mov_b32 s3, s42
	v_pk_fma_f32 v[170:171], v[146:147], s[10:11], v[124:125] op_sel:[0,0,1] op_sel_hi:[1,0,0] neg_lo:[0,0,1] neg_hi:[0,0,1]
	v_pk_fma_f32 v[160:161], v[146:147], s[10:11], v[124:125] op_sel:[0,0,1] op_sel_hi:[1,0,0]
	v_mov_b32_e32 v124, v170
	v_mov_b32_e32 v125, v161
	v_pk_fma_f32 v[126:127], v[128:129], s[2:3], v[168:169] neg_lo:[0,0,1] neg_hi:[0,0,1]
	v_pk_fma_f32 v[162:163], v[128:129], s[2:3], v[168:169]
	v_pk_add_f32 v[124:125], v[122:123], v[124:125]
	v_mov_b32_e32 v127, v163
	v_pk_add_f32 v[126:127], v[126:127], v[124:125]
	v_pk_add_f32 v[124:125], v[88:89], v[74:75] neg_lo:[0,1] neg_hi:[0,1]
	v_pk_add_f32 v[152:153], v[88:89], v[74:75]
	v_mov_b32_e32 v135, v124
	v_mov_b32_e32 v134, v152
	v_mov_b32_e32 v152, v125
	v_pk_add_f32 v[124:125], v[90:91], v[72:73] neg_lo:[0,1] neg_hi:[0,1]
	v_pk_add_f32 v[154:155], v[90:91], v[72:73]
	v_mov_b32_e32 v137, v124
	v_mov_b32_e32 v136, v154
	v_mov_b32_e32 v154, v125
	v_pk_add_f32 v[124:125], v[64:65], v[70:71] neg_lo:[0,1] neg_hi:[0,1]
	v_pk_add_f32 v[156:157], v[64:65], v[70:71]
	v_mov_b32_e32 v139, v124
	v_mov_b32_e32 v138, v156
	v_mov_b32_e32 v156, v125
	v_pk_add_f32 v[124:125], v[66:67], v[68:69] neg_lo:[0,1] neg_hi:[0,1]
	v_pk_add_f32 v[158:159], v[66:67], v[68:69]
	s_mov_b32 s52, 0xbeb8f4ab
	v_mov_b32_e32 v140, v158
	v_mov_b32_e32 v141, v124
	;; [unrolled: 1-line block ×5, first 2 shown]
	s_mov_b32 s53, 0x3f6eb680
	v_pk_mul_f32 v[176:177], v[124:125], s[52:53]
	v_mov_b32_e32 v210, v146
	v_mov_b32_e32 v211, v150
	s_mov_b32 s14, s53
	s_mov_b32 s15, s52
	v_pk_fma_f32 v[124:125], v[210:211], s[14:15], v[176:177] neg_lo:[0,0,1] neg_hi:[0,0,1]
	v_pk_fma_f32 v[178:179], v[210:211], s[14:15], v[176:177]
	v_pk_mul_f32 v[180:181], v[142:143], s[48:49]
	s_mov_b32 s26, s49
	s_mov_b32 s27, s48
	v_mov_b32_e32 v125, v179
	v_pk_fma_f32 v[184:185], v[128:129], s[26:27], v[180:181] neg_lo:[0,0,1] neg_hi:[0,0,1]
	v_pk_fma_f32 v[182:183], v[128:129], s[26:27], v[180:181]
	s_mov_b32 s62, 0xbf65296c
	v_pk_add_f32 v[124:125], v[122:123], v[124:125]
	v_mov_b32_e32 v185, v183
	s_mov_b32 s63, 0x3ee437d1
	v_pk_add_f32 v[124:125], v[184:185], v[124:125]
	v_pk_mul_f32 v[184:185], v[144:145], s[62:63]
	s_mov_b32 s20, s63
	s_mov_b32 s21, s62
	v_pk_fma_f32 v[188:189], v[130:131], s[20:21], v[184:185] neg_lo:[0,0,1] neg_hi:[0,0,1]
	v_pk_fma_f32 v[186:187], v[130:131], s[20:21], v[184:185]
	v_pk_mul_f32 v[190:191], v[148:149], s[42:43]
	v_mov_b32_e32 v189, v187
	v_pk_add_f32 v[124:125], v[188:189], v[124:125]
	v_pk_fma_f32 v[192:193], v[132:133], s[2:3], v[190:191] neg_lo:[0,0,1] neg_hi:[0,0,1]
	v_pk_fma_f32 v[188:189], v[132:133], s[2:3], v[190:191]
	s_mov_b32 s50, 0xbf763a35
	v_mov_b32_e32 v193, v189
	s_mov_b32 s51, 0xbe8c1d8e
	s_mov_b32 s36, 0xbf4c4adb
	v_pk_add_f32 v[124:125], v[192:193], v[124:125]
	v_pk_mul_f32 v[192:193], v[152:153], s[50:51]
	s_mov_b32 s34, s51
	s_mov_b32 s35, s50
	;; [unrolled: 1-line block ×3, first 2 shown]
	v_pk_fma_f32 v[196:197], v[134:135], s[34:35], v[192:193] neg_lo:[0,0,1] neg_hi:[0,0,1]
	v_pk_fma_f32 v[194:195], v[134:135], s[34:35], v[192:193]
	s_mov_b32 s10, s37
	s_mov_b32 s11, s36
	v_mov_b32_e32 v197, v195
	v_pk_mul_f32 v[198:199], v[154:155], s[36:37]
	v_pk_add_f32 v[124:125], v[196:197], v[124:125]
	v_pk_fma_f32 v[200:201], v[136:137], s[10:11], v[198:199] neg_lo:[0,0,1] neg_hi:[0,0,1]
	v_pk_fma_f32 v[196:197], v[136:137], s[10:11], v[198:199]
	s_mov_b32 s54, 0xbf06c442
	v_mov_b32_e32 v201, v197
	s_mov_b32 s55, 0xbf59a7d5
	s_mov_b32 s38, 0xbe3c28d5
	v_pk_add_f32 v[124:125], v[200:201], v[124:125]
	v_pk_mul_f32 v[200:201], v[156:157], s[54:55]
	s_mov_b32 s18, s55
	s_mov_b32 s19, s54
	v_pk_mul_f32 v[172:173], v[144:145], s[36:37]
	s_mov_b32 s39, 0xbf7ba420
	v_pk_fma_f32 v[204:205], v[138:139], s[18:19], v[200:201] neg_lo:[0,0,1] neg_hi:[0,0,1]
	v_pk_fma_f32 v[202:203], v[138:139], s[18:19], v[200:201]
	v_pk_fma_f32 v[208:209], v[130:131], s[10:11], v[172:173] neg_lo:[0,0,1] neg_hi:[0,0,1]
	v_pk_fma_f32 v[164:165], v[130:131], s[10:11], v[172:173]
	v_pk_mul_f32 v[174:175], v[148:149], s[38:39]
	s_mov_b32 s16, s39
	s_mov_b32 s17, s38
	v_mov_b32_e32 v205, v203
	v_pk_mul_f32 v[206:207], v[158:159], s[38:39]
	v_pk_fma_f32 v[212:213], v[132:133], s[16:17], v[174:175] neg_lo:[0,0,1] neg_hi:[0,0,1]
	v_pk_fma_f32 v[166:167], v[132:133], s[16:17], v[174:175]
	v_pk_add_f32 v[124:125], v[204:205], v[124:125]
	v_pk_fma_f32 v[214:215], v[140:141], s[16:17], v[206:207] neg_lo:[0,0,1] neg_hi:[0,0,1]
	v_pk_fma_f32 v[204:205], v[140:141], s[16:17], v[206:207]
	v_mov_b32_e32 v209, v165
	s_mov_b32 s66, 0x3f06c442
	s_mov_b32 s67, s55
	v_mov_b32_e32 v215, v205
	v_pk_add_f32 v[126:127], v[208:209], v[126:127]
	v_mov_b32_e32 v213, v167
	v_pk_mul_f32 v[208:209], v[152:153], s[66:67]
	s_mov_b32 s30, s55
	s_mov_b32 s31, s66
	v_pk_add_f32 v[124:125], v[214:215], v[124:125]
	v_pk_add_f32 v[126:127], v[212:213], v[126:127]
	v_pk_fma_f32 v[214:215], v[134:135], s[30:31], v[208:209] neg_lo:[0,0,1] neg_hi:[0,0,1]
	v_pk_fma_f32 v[212:213], v[134:135], s[30:31], v[208:209]
	s_mov_b32 s64, 0x3f763a35
	v_mov_b32_e32 v215, v213
	s_mov_b32 s65, s51
	v_pk_add_f32 v[126:127], v[214:215], v[126:127]
	v_pk_mul_f32 v[214:215], v[154:155], s[64:65]
	s_mov_b32 s22, s51
	s_mov_b32 s23, s64
	v_pk_fma_f32 v[218:219], v[136:137], s[22:23], v[214:215] neg_lo:[0,0,1] neg_hi:[0,0,1]
	v_pk_fma_f32 v[216:217], v[136:137], s[22:23], v[214:215]
	s_mov_b32 s56, 0x3f65296c
	v_mov_b32_e32 v219, v217
	s_mov_b32 s57, s63
	v_pk_add_f32 v[126:127], v[218:219], v[126:127]
	v_pk_mul_f32 v[218:219], v[156:157], s[56:57]
	s_mov_b32 s40, s63
	s_mov_b32 s41, s56
	;; [unrolled: 9-line block ×3, first 2 shown]
	v_pk_fma_f32 v[228:229], v[140:141], s[28:29], v[222:223] neg_lo:[0,0,1] neg_hi:[0,0,1]
	v_pk_fma_f32 v[224:225], v[140:141], s[28:29], v[222:223]
	s_nop 0
	v_mov_b32_e32 v229, v225
	v_pk_add_f32 v[126:127], v[228:229], v[126:127]
	s_barrier
	s_and_saveexec_b64 s[24:25], vcc
	s_cbranch_execz .LBB0_17
; %bb.16:
	v_pk_add_f32 v[80:81], v[80:81], v[122:123]
	v_pk_mul_f32 v[228:229], v[128:129], s[2:3]
	v_pk_add_f32 v[80:81], v[82:83], v[80:81]
	v_pk_mul_f32 v[210:211], v[210:211], s[14:15]
	v_pk_add_f32 v[80:81], v[84:85], v[80:81]
	v_accvgpr_write_b32 a0, v230
	v_pk_add_f32 v[80:81], v[86:87], v[80:81]
	v_pk_mul_f32 v[230:231], v[130:131], s[10:11]
	v_pk_add_f32 v[80:81], v[88:89], v[80:81]
	v_accvgpr_write_b32 a4, v234
	;; [unrolled: 4-line block ×3, first 2 shown]
	v_pk_add_f32 v[64:65], v[66:67], v[64:65]
	v_pk_add_f32 v[168:169], v[168:169], v[228:229] neg_lo:[0,1] neg_hi:[0,1]
	v_pk_add_f32 v[64:65], v[68:69], v[64:65]
	v_accvgpr_write_b32 a2, v232
	v_pk_add_f32 v[64:65], v[70:71], v[64:65]
	v_pk_mul_f32 v[232:233], v[132:133], s[16:17]
	v_pk_add_f32 v[64:65], v[72:73], v[64:65]
	v_accvgpr_write_b32 a19, v237
	v_pk_add_f32 v[64:65], v[74:75], v[64:65]
	v_pk_mul_f32 v[236:237], v[130:131], s[20:21]
	v_pk_add_f32 v[64:65], v[76:77], v[64:65]
	v_accvgpr_write_b32 a20, v238
	v_pk_add_f32 v[64:65], v[78:79], v[64:65]
	v_mov_b32_e32 v163, v169
	v_pk_add_f32 v[60:61], v[60:61], v[64:65]
	v_pk_add_f32 v[168:169], v[172:173], v[230:231] neg_lo:[0,1] neg_hi:[0,1]
	v_pk_add_f32 v[60:61], v[62:63], v[60:61]
	v_pk_add_f32 v[62:63], v[176:177], v[210:211] neg_lo:[0,1] neg_hi:[0,1]
	v_pk_add_f32 v[64:65], v[180:181], v[234:235] neg_lo:[0,1] neg_hi:[0,1]
	v_mov_b32_e32 v179, v63
	s_mov_b32 s58, s63
	v_pk_mul_f32 v[76:77], v[150:151], s[62:63] op_sel_hi:[1,0]
	v_accvgpr_write_b32 a21, v239
	v_pk_mul_f32 v[238:239], v[132:133], s[2:3]
	v_mov_b32_e32 v165, v169
	v_pk_add_f32 v[168:169], v[174:175], v[232:233] neg_lo:[0,1] neg_hi:[0,1]
	v_pk_add_f32 v[62:63], v[122:123], v[178:179]
	v_mov_b32_e32 v183, v65
	v_pk_add_f32 v[64:65], v[184:185], v[236:237] neg_lo:[0,1] neg_hi:[0,1]
	v_pk_mul_f32 v[174:175], v[142:143], s[36:37]
	s_mov_b32 s47, 0x3e3c28d5
	v_pk_fma_f32 v[78:79], v[146:147], s[58:59], v[76:77] op_sel:[0,0,1] op_sel_hi:[1,0,0]
	v_pk_fma_f32 v[76:77], v[146:147], s[58:59], v[76:77] op_sel:[0,0,1] op_sel_hi:[1,0,0] neg_lo:[0,0,1] neg_hi:[0,0,1]
	v_accvgpr_write_b32 a24, v240
	v_pk_mul_f32 v[240:241], v[134:135], s[34:35]
	v_pk_add_f32 v[62:63], v[182:183], v[62:63]
	v_mov_b32_e32 v187, v65
	v_pk_add_f32 v[64:65], v[190:191], v[238:239] neg_lo:[0,1] neg_hi:[0,1]
	s_mov_b32 s44, s47
	s_mov_b32 s45, s39
	v_mov_b32_e32 v173, v79
	v_mov_b32_e32 v79, v77
	v_pk_fma_f32 v[36:37], v[128:129], s[10:11], v[174:175]
	v_pk_fma_f32 v[82:83], v[128:129], s[10:11], v[174:175] neg_lo:[1,0,0] neg_hi:[1,0,0]
	v_accvgpr_write_b32 a28, v242
	v_pk_mul_f32 v[242:243], v[136:137], s[10:11]
	v_pk_add_f32 v[62:63], v[186:187], v[62:63]
	v_mov_b32_e32 v189, v65
	v_pk_add_f32 v[64:65], v[192:193], v[240:241] neg_lo:[0,1] neg_hi:[0,1]
	s_mov_b32 s46, s39
	v_pk_mul_f32 v[72:73], v[144:145], s[44:45]
	v_pk_add_f32 v[80:81], v[122:123], v[78:79]
	v_mov_b32_e32 v82, v36
	v_accvgpr_write_b32 a32, v244
	v_pk_mul_f32 v[244:245], v[138:139], s[18:19]
	v_pk_add_f32 v[62:63], v[188:189], v[62:63]
	v_mov_b32_e32 v195, v65
	v_pk_add_f32 v[64:65], v[198:199], v[242:243] neg_lo:[0,1] neg_hi:[0,1]
	v_pk_add_f32 v[82:83], v[82:83], v[80:81]
	v_pk_fma_f32 v[80:81], v[130:131], s[46:47], v[72:73]
	v_pk_fma_f32 v[84:85], v[130:131], s[46:47], v[72:73] neg_lo:[1,0,0] neg_hi:[1,0,0]
	v_pk_mul_f32 v[246:247], v[140:141], s[16:17]
	v_pk_add_f32 v[62:63], v[194:195], v[62:63]
	v_mov_b32_e32 v197, v65
	v_pk_add_f32 v[64:65], v[200:201], v[244:245] neg_lo:[0,1] neg_hi:[0,1]
	v_pk_mul_f32 v[6:7], v[148:149], s[64:65]
	s_mov_b32 s45, 0x3f2c7751
	v_mov_b32_e32 v84, v80
	v_pk_add_f32 v[62:63], v[196:197], v[62:63]
	v_mov_b32_e32 v203, v65
	v_pk_add_f32 v[64:65], v[206:207], v[246:247] neg_lo:[0,1] neg_hi:[0,1]
	s_mov_b32 s68, s45
	s_mov_b32 s69, s49
	v_pk_add_f32 v[84:85], v[84:85], v[82:83]
	v_pk_fma_f32 v[82:83], v[132:133], s[22:23], v[6:7]
	v_pk_fma_f32 v[86:87], v[132:133], s[22:23], v[6:7] neg_lo:[1,0,0] neg_hi:[1,0,0]
	v_pk_add_f32 v[62:63], v[202:203], v[62:63]
	v_mov_b32_e32 v205, v65
	s_mov_b32 s44, s49
	v_pk_mul_f32 v[74:75], v[152:153], s[68:69]
	v_mov_b32_e32 v86, v82
	s_mov_b32 s72, s43
	v_pk_mul_f32 v[176:177], v[150:151], s[42:43] op_sel_hi:[1,0]
	v_mov_b32_e32 v161, v171
	v_lshl_add_u32 v172, v226, 3, v227
	v_pk_add_f32 v[62:63], v[204:205], v[62:63]
	v_pk_add_f32 v[86:87], v[86:87], v[84:85]
	v_pk_fma_f32 v[84:85], v[134:135], s[44:45], v[74:75]
	v_pk_fma_f32 v[88:89], v[134:135], s[44:45], v[74:75] neg_lo:[1,0,0] neg_hi:[1,0,0]
	v_pk_fma_f32 v[78:79], v[146:147], s[72:73], v[176:177] op_sel:[0,0,1] op_sel_hi:[1,0,0]
	v_pk_fma_f32 v[176:177], v[146:147], s[72:73], v[176:177] op_sel:[0,0,1] op_sel_hi:[1,0,0] neg_lo:[0,0,1] neg_hi:[0,0,1]
	ds_write2_b64 v172, v[60:61], v[62:63] offset1:1
	v_pk_add_f32 v[60:61], v[122:123], v[160:161]
	v_pk_mul_f32 v[4:5], v[154:155], s[52:53]
	v_mov_b32_e32 v88, v84
	v_pk_mul_f32 v[66:67], v[142:143], s[38:39]
	v_mov_b32_e32 v178, v78
	v_mov_b32_e32 v179, v177
	v_pk_mul_f32 v[248:249], v[134:135], s[30:31]
	v_pk_add_f32 v[60:61], v[162:163], v[60:61]
	v_pk_add_f32 v[88:89], v[88:89], v[86:87]
	v_pk_fma_f32 v[86:87], v[136:137], s[14:15], v[4:5]
	v_pk_fma_f32 v[90:91], v[136:137], s[14:15], v[4:5] neg_lo:[1,0,0] neg_hi:[1,0,0]
	v_pk_add_f32 v[180:181], v[122:123], v[178:179]
	v_pk_fma_f32 v[178:179], v[128:129], s[16:17], v[66:67]
	v_pk_fma_f32 v[182:183], v[128:129], s[16:17], v[66:67] neg_lo:[1,0,0] neg_hi:[1,0,0]
	v_pk_mul_f32 v[250:251], v[136:137], s[22:23]
	v_mov_b32_e32 v167, v169
	v_pk_add_f32 v[60:61], v[164:165], v[60:61]
	v_pk_add_f32 v[62:63], v[208:209], v[248:249] neg_lo:[0,1] neg_hi:[0,1]
	v_pk_mul_f32 v[2:3], v[156:157], s[42:43]
	v_mov_b32_e32 v90, v86
	v_pk_mul_f32 v[68:69], v[144:145], s[64:65]
	v_mov_b32_e32 v182, v178
	v_pk_mul_f32 v[252:253], v[138:139], s[40:41]
	v_pk_add_f32 v[60:61], v[166:167], v[60:61]
	v_mov_b32_e32 v213, v63
	v_pk_add_f32 v[62:63], v[214:215], v[250:251] neg_lo:[0,1] neg_hi:[0,1]
	v_pk_add_f32 v[90:91], v[90:91], v[88:89]
	v_pk_fma_f32 v[88:89], v[138:139], s[2:3], v[2:3]
	v_pk_fma_f32 v[162:163], v[138:139], s[2:3], v[2:3] neg_lo:[1,0,0] neg_hi:[1,0,0]
	v_pk_add_f32 v[182:183], v[182:183], v[180:181]
	v_pk_fma_f32 v[180:181], v[130:131], s[22:23], v[68:69]
	v_pk_fma_f32 v[184:185], v[130:131], s[22:23], v[68:69] neg_lo:[1,0,0] neg_hi:[1,0,0]
	s_mov_b32 s72, s51
	v_pk_mul_f32 v[208:209], v[150:151], s[50:51] op_sel_hi:[1,0]
	v_pk_mul_f32 v[254:255], v[140:141], s[28:29]
	v_pk_add_f32 v[60:61], v[212:213], v[60:61]
	v_mov_b32_e32 v217, v63
	v_pk_add_f32 v[62:63], v[218:219], v[252:253] neg_lo:[0,1] neg_hi:[0,1]
	v_pk_mul_f32 v[0:1], v[158:159], s[54:55]
	v_mov_b32_e32 v162, v88
	v_pk_mul_f32 v[70:71], v[148:149], s[60:61]
	v_mov_b32_e32 v184, v180
	v_pk_fma_f32 v[206:207], v[146:147], s[72:73], v[208:209] op_sel:[0,0,1] op_sel_hi:[1,0,0]
	v_pk_fma_f32 v[208:209], v[146:147], s[72:73], v[208:209] op_sel:[0,0,1] op_sel_hi:[1,0,0] neg_lo:[0,0,1] neg_hi:[0,0,1]
	v_pk_add_f32 v[60:61], v[216:217], v[60:61]
	v_mov_b32_e32 v221, v63
	v_pk_add_f32 v[62:63], v[222:223], v[254:255] neg_lo:[0,1] neg_hi:[0,1]
	v_pk_add_f32 v[162:163], v[162:163], v[90:91]
	v_pk_fma_f32 v[90:91], v[140:141], s[18:19], v[0:1]
	v_pk_fma_f32 v[164:165], v[140:141], s[18:19], v[0:1] neg_lo:[1,0,0] neg_hi:[1,0,0]
	v_pk_add_f32 v[184:185], v[184:185], v[182:183]
	v_pk_fma_f32 v[182:183], v[132:133], s[28:29], v[70:71]
	v_pk_fma_f32 v[186:187], v[132:133], s[28:29], v[70:71] neg_lo:[1,0,0] neg_hi:[1,0,0]
	v_pk_mul_f32 v[204:205], v[142:143], s[66:67]
	v_mov_b32_e32 v210, v206
	v_mov_b32_e32 v211, v209
	v_pk_add_f32 v[60:61], v[220:221], v[60:61]
	v_mov_b32_e32 v225, v63
	v_mov_b32_e32 v164, v90
	v_pk_mul_f32 v[166:167], v[152:153], s[62:63]
	v_mov_b32_e32 v186, v182
	v_pk_add_f32 v[212:213], v[122:123], v[210:211]
	v_pk_fma_f32 v[210:211], v[128:129], s[30:31], v[204:205]
	v_pk_fma_f32 v[214:215], v[128:129], s[30:31], v[204:205] neg_lo:[1,0,0] neg_hi:[1,0,0]
	v_pk_add_f32 v[160:161], v[224:225], v[60:61]
	v_pk_add_f32 v[162:163], v[164:165], v[162:163]
	v_pk_add_f32 v[186:187], v[186:187], v[184:185]
	v_pk_fma_f32 v[184:185], v[134:135], s[20:21], v[166:167]
	v_pk_fma_f32 v[188:189], v[134:135], s[20:21], v[166:167] neg_lo:[1,0,0] neg_hi:[1,0,0]
	v_pk_mul_f32 v[202:203], v[144:145], s[68:69]
	v_mov_b32_e32 v214, v210
	ds_write2_b64 v172, v[160:161], v[162:163] offset0:2 offset1:3
	v_pk_mul_f32 v[162:163], v[154:155], s[54:55]
	s_mov_b32 s59, 0x3f4c4adb
	v_mov_b32_e32 v188, v184
	v_pk_add_f32 v[214:215], v[214:215], v[212:213]
	v_pk_fma_f32 v[212:213], v[130:131], s[44:45], v[202:203]
	v_pk_fma_f32 v[216:217], v[130:131], s[44:45], v[202:203] neg_lo:[1,0,0] neg_hi:[1,0,0]
	s_mov_b32 s70, s59
	s_mov_b32 s71, s37
	v_pk_add_f32 v[188:189], v[188:189], v[186:187]
	v_pk_fma_f32 v[186:187], v[136:137], s[18:19], v[162:163]
	v_pk_fma_f32 v[190:191], v[136:137], s[18:19], v[162:163] neg_lo:[1,0,0] neg_hi:[1,0,0]
	v_pk_mul_f32 v[200:201], v[148:149], s[62:63]
	v_mov_b32_e32 v216, v212
	s_mov_b32 s58, s37
	v_pk_mul_f32 v[164:165], v[156:157], s[70:71]
	v_mov_b32_e32 v190, v186
	v_pk_add_f32 v[216:217], v[216:217], v[214:215]
	v_pk_fma_f32 v[214:215], v[132:133], s[20:21], v[200:201]
	v_pk_fma_f32 v[218:219], v[132:133], s[20:21], v[200:201] neg_lo:[1,0,0] neg_hi:[1,0,0]
	v_pk_add_f32 v[190:191], v[190:191], v[188:189]
	v_pk_fma_f32 v[188:189], v[138:139], s[58:59], v[164:165]
	v_pk_fma_f32 v[192:193], v[138:139], s[58:59], v[164:165] neg_lo:[1,0,0] neg_hi:[1,0,0]
	v_pk_mul_f32 v[196:197], v[152:153], s[38:39]
	s_mov_b32 s63, 0x3f7ee86f
	v_mov_b32_e32 v218, v214
	v_pk_mul_f32 v[160:161], v[158:159], s[68:69]
	v_mov_b32_e32 v192, v188
	s_mov_b32 s66, s63
	s_mov_b32 s67, s43
	v_pk_add_f32 v[218:219], v[218:219], v[216:217]
	v_pk_fma_f32 v[216:217], v[134:135], s[16:17], v[196:197]
	v_pk_fma_f32 v[220:221], v[134:135], s[16:17], v[196:197] neg_lo:[1,0,0] neg_hi:[1,0,0]
	v_pk_add_f32 v[192:193], v[192:193], v[190:191]
	v_pk_fma_f32 v[190:191], v[140:141], s[44:45], v[160:161]
	v_pk_fma_f32 v[194:195], v[140:141], s[44:45], v[160:161] neg_lo:[1,0,0] neg_hi:[1,0,0]
	s_mov_b32 s62, s43
	v_pk_mul_f32 v[198:199], v[154:155], s[66:67]
	v_mov_b32_e32 v220, v216
	v_mov_b32_e32 v194, v190
	v_pk_add_f32 v[220:221], v[220:221], v[218:219]
	v_pk_fma_f32 v[218:219], v[136:137], s[62:63], v[198:199]
	v_pk_fma_f32 v[222:223], v[136:137], s[62:63], v[198:199] neg_lo:[1,0,0] neg_hi:[1,0,0]
	v_pk_add_f32 v[224:225], v[194:195], v[192:193]
	v_pk_mul_f32 v[194:195], v[156:157], s[52:53]
	v_mov_b32_e32 v222, v218
	v_pk_add_f32 v[222:223], v[222:223], v[220:221]
	v_pk_fma_f32 v[220:221], v[138:139], s[14:15], v[194:195]
	v_mov_b32_e32 v77, v227
	v_pk_fma_f32 v[226:227], v[138:139], s[14:15], v[194:195] neg_lo:[1,0,0] neg_hi:[1,0,0]
	v_pk_mul_f32 v[192:193], v[158:159], s[36:37]
	v_mov_b32_e32 v226, v220
	v_pk_add_f32 v[226:227], v[226:227], v[222:223]
	v_pk_fma_f32 v[222:223], v[140:141], s[10:11], v[192:193]
	v_pk_fma_f32 v[228:229], v[140:141], s[10:11], v[192:193] neg_lo:[1,0,0] neg_hi:[1,0,0]
	s_mov_b32 s72, s37
	v_mov_b32_e32 v228, v222
	v_pk_add_f32 v[226:227], v[228:229], v[226:227]
	ds_write2_b64 v172, v[224:225], v[226:227] offset0:4 offset1:5
	v_pk_mul_f32 v[224:225], v[150:151], s[36:37] op_sel_hi:[1,0]
	v_pk_mul_f32 v[226:227], v[142:143], s[64:65]
	v_pk_fma_f32 v[240:241], v[146:147], s[72:73], v[224:225] op_sel:[0,0,1] op_sel_hi:[1,0,0]
	v_pk_fma_f32 v[224:225], v[146:147], s[72:73], v[224:225] op_sel:[0,0,1] op_sel_hi:[1,0,0] neg_lo:[0,0,1] neg_hi:[0,0,1]
	v_mov_b32_e32 v242, v240
	v_mov_b32_e32 v243, v225
	v_pk_fma_f32 v[244:245], v[128:129], s[22:23], v[226:227]
	v_pk_fma_f32 v[246:247], v[128:129], s[22:23], v[226:227] neg_lo:[1,0,0] neg_hi:[1,0,0]
	v_pk_mul_f32 v[228:229], v[144:145], s[52:53]
	v_pk_add_f32 v[242:243], v[122:123], v[242:243]
	v_mov_b32_e32 v246, v244
	v_pk_add_f32 v[242:243], v[246:247], v[242:243]
	v_pk_fma_f32 v[246:247], v[130:131], s[14:15], v[228:229]
	v_pk_fma_f32 v[248:249], v[130:131], s[14:15], v[228:229] neg_lo:[1,0,0] neg_hi:[1,0,0]
	v_pk_mul_f32 v[230:231], v[148:149], s[54:55]
	v_mov_b32_e32 v248, v246
	v_pk_add_f32 v[242:243], v[248:249], v[242:243]
	v_pk_fma_f32 v[248:249], v[132:133], s[18:19], v[230:231]
	v_pk_fma_f32 v[250:251], v[132:133], s[18:19], v[230:231] neg_lo:[1,0,0] neg_hi:[1,0,0]
	v_pk_mul_f32 v[232:233], v[152:153], s[66:67]
	;; [unrolled: 5-line block ×5, first 2 shown]
	v_mov_b32_e32 v254, v64
	v_pk_add_f32 v[242:243], v[254:255], v[242:243]
	v_pk_fma_f32 v[62:63], v[140:141], s[40:41], v[238:239]
	v_pk_fma_f32 v[254:255], v[140:141], s[40:41], v[238:239] neg_lo:[1,0,0] neg_hi:[1,0,0]
	s_mov_b32 s48, s55
	v_mov_b32_e32 v254, v62
	v_pk_add_f32 v[242:243], v[254:255], v[242:243]
	v_pk_mul_f32 v[254:255], v[150:151], s[54:55] op_sel_hi:[1,0]
	v_accvgpr_write_b32 a34, v118
	v_pk_mul_f32 v[118:119], v[142:143], s[56:57]
	v_pk_fma_f32 v[38:39], v[146:147], s[48:49], v[254:255] op_sel:[0,0,1] op_sel_hi:[1,0,0]
	v_pk_fma_f32 v[254:255], v[146:147], s[48:49], v[254:255] op_sel:[0,0,1] op_sel_hi:[1,0,0] neg_lo:[0,0,1] neg_hi:[0,0,1]
	v_accvgpr_write_b32 a10, v104
	v_accvgpr_write_b32 a38, v124
	;; [unrolled: 1-line block ×3, first 2 shown]
	v_mov_b32_e32 v114, v38
	v_mov_b32_e32 v38, v115
	;; [unrolled: 1-line block ×3, first 2 shown]
	v_accvgpr_write_b32 a11, v105
	v_accvgpr_write_b32 a12, v106
	;; [unrolled: 1-line block ×3, first 2 shown]
	v_pk_fma_f32 v[106:107], v[128:129], s[40:41], v[118:119]
	v_accvgpr_write_b32 a39, v125
	v_pk_fma_f32 v[124:125], v[128:129], s[40:41], v[118:119] neg_lo:[1,0,0] neg_hi:[1,0,0]
	v_accvgpr_write_b32 a36, v120
	v_pk_mul_f32 v[120:121], v[144:145], s[42:43]
	v_pk_add_f32 v[114:115], v[122:123], v[114:115]
	v_mov_b32_e32 v124, v106
	v_accvgpr_write_b32 a22, v116
	v_accvgpr_write_b32 a6, v98
	v_pk_add_f32 v[114:115], v[124:125], v[114:115]
	v_pk_fma_f32 v[116:117], v[130:131], s[2:3], v[120:121]
	v_pk_fma_f32 v[124:125], v[130:131], s[2:3], v[120:121] neg_lo:[1,0,0] neg_hi:[1,0,0]
	v_accvgpr_write_b32 a7, v99
	v_accvgpr_write_b32 a8, v100
	;; [unrolled: 1-line block ×3, first 2 shown]
	v_pk_mul_f32 v[98:99], v[148:149], s[70:71]
	v_mov_b32_e32 v124, v116
	v_accvgpr_write_b32 a40, v126
	v_pk_add_f32 v[114:115], v[124:125], v[114:115]
	v_accvgpr_write_b32 a41, v127
	v_pk_fma_f32 v[126:127], v[132:133], s[58:59], v[98:99]
	v_pk_fma_f32 v[124:125], v[132:133], s[58:59], v[98:99] neg_lo:[1,0,0] neg_hi:[1,0,0]
	v_pk_mul_f32 v[100:101], v[152:153], s[52:53]
	v_mov_b32_e32 v124, v126
	v_pk_add_f32 v[114:115], v[124:125], v[114:115]
	v_pk_fma_f32 v[104:105], v[134:135], s[14:15], v[100:101]
	v_pk_fma_f32 v[124:125], v[134:135], s[14:15], v[100:101] neg_lo:[1,0,0] neg_hi:[1,0,0]
	v_mov_b32_e32 v62, v102
	v_mov_b32_e32 v64, v103
	v_pk_mul_f32 v[102:103], v[154:155], s[38:39]
	v_mov_b32_e32 v124, v104
	v_pk_add_f32 v[114:115], v[124:125], v[114:115]
	v_pk_fma_f32 v[60:61], v[136:137], s[16:17], v[102:103]
	v_pk_fma_f32 v[124:125], v[136:137], s[16:17], v[102:103] neg_lo:[1,0,0] neg_hi:[1,0,0]
	v_accvgpr_write_b32 a30, v110
	v_accvgpr_write_b32 a47, v3
	v_mov_b32_e32 v78, v111
	v_pk_mul_f32 v[110:111], v[156:157], s[68:69]
	v_mov_b32_e32 v124, v60
	v_accvgpr_write_b32 a46, v2
	v_accvgpr_write_b32 a16, v112
	v_pk_add_f32 v[2:3], v[124:125], v[114:115]
	v_pk_fma_f32 v[114:115], v[138:139], s[44:45], v[110:111]
	v_pk_fma_f32 v[124:125], v[138:139], s[44:45], v[110:111] neg_lo:[1,0,0] neg_hi:[1,0,0]
	v_accvgpr_write_b32 a45, v5
	v_accvgpr_write_b32 a17, v113
	v_pk_mul_f32 v[112:113], v[158:159], s[50:51]
	v_mov_b32_e32 v124, v114
	v_accvgpr_write_b32 a44, v4
	v_pk_add_f32 v[2:3], v[124:125], v[2:3]
	v_pk_fma_f32 v[4:5], v[140:141], s[34:35], v[112:113]
	v_pk_fma_f32 v[124:125], v[140:141], s[34:35], v[112:113] neg_lo:[1,0,0] neg_hi:[1,0,0]
	v_accvgpr_write_b32 a43, v7
	v_mov_b32_e32 v124, v4
	v_pk_add_f32 v[2:3], v[124:125], v[2:3]
	ds_write2_b64 v172, v[242:243], v[2:3] offset0:6 offset1:7
	s_mov_b32 s42, s39
	v_pk_mul_f32 v[2:3], v[150:151], s[38:39] op_sel_hi:[1,0]
	v_accvgpr_write_b32 a42, v6
	v_pk_mul_f32 v[6:7], v[142:143], s[60:61]
	v_pk_mul_f32 v[142:143], v[148:149], s[68:69]
	;; [unrolled: 1-line block ×3, first 2 shown]
	v_pk_fma_f32 v[154:155], v[146:147], s[42:43], v[2:3] op_sel:[0,0,1] op_sel_hi:[1,0,0]
	v_pk_fma_f32 v[2:3], v[146:147], s[42:43], v[2:3] op_sel:[0,0,1] op_sel_hi:[1,0,0] neg_lo:[0,0,1] neg_hi:[0,0,1]
	v_pk_mul_f32 v[124:125], v[144:145], s[54:55]
	v_pk_mul_f32 v[144:145], v[152:153], s[36:37]
	v_pk_mul_f32 v[150:151], v[156:157], s[50:51]
	v_pk_mul_f32 v[152:153], v[158:159], s[66:67]
	v_mov_b32_e32 v146, v154
	v_mov_b32_e32 v147, v3
	v_pk_fma_f32 v[156:157], v[128:129], s[28:29], v[6:7]
	v_pk_fma_f32 v[158:159], v[128:129], s[28:29], v[6:7] neg_lo:[1,0,0] neg_hi:[1,0,0]
	v_mov_b32_e32 v3, v155
	v_pk_fma_f32 v[6:7], v[128:129], s[28:29], v[6:7] neg_lo:[0,0,1] neg_hi:[0,0,1]
	v_pk_add_f32 v[146:147], v[122:123], v[146:147]
	v_mov_b32_e32 v158, v156
	v_pk_add_f32 v[2:3], v[122:123], v[2:3]
	v_mov_b32_e32 v7, v157
	v_pk_add_f32 v[146:147], v[158:159], v[146:147]
	v_pk_fma_f32 v[158:159], v[130:131], s[18:19], v[124:125]
	v_pk_fma_f32 v[242:243], v[130:131], s[18:19], v[124:125] neg_lo:[1,0,0] neg_hi:[1,0,0]
	v_pk_add_f32 v[2:3], v[6:7], v[2:3]
	v_pk_fma_f32 v[6:7], v[130:131], s[18:19], v[124:125] neg_lo:[0,0,1] neg_hi:[0,0,1]
	v_accvgpr_write_b32 a49, v1
	v_mov_b32_e32 v242, v158
	v_mov_b32_e32 v7, v159
	v_accvgpr_write_b32 a48, v0
	v_pk_add_f32 v[146:147], v[242:243], v[146:147]
	v_pk_fma_f32 v[0:1], v[132:133], s[44:45], v[142:143]
	v_pk_fma_f32 v[242:243], v[132:133], s[44:45], v[142:143] neg_lo:[1,0,0] neg_hi:[1,0,0]
	v_pk_add_f32 v[2:3], v[6:7], v[2:3]
	v_pk_fma_f32 v[6:7], v[132:133], s[44:45], v[142:143] neg_lo:[0,0,1] neg_hi:[0,0,1]
	v_mov_b32_e32 v242, v0
	v_accvgpr_write_b32 a14, v108
	v_mov_b32_e32 v7, v1
	v_pk_add_f32 v[146:147], v[242:243], v[146:147]
	v_accvgpr_write_b32 a15, v109
	v_pk_fma_f32 v[108:109], v[134:135], s[10:11], v[144:145]
	v_pk_fma_f32 v[242:243], v[134:135], s[10:11], v[144:145] neg_lo:[1,0,0] neg_hi:[1,0,0]
	v_pk_add_f32 v[0:1], v[6:7], v[2:3]
	v_pk_fma_f32 v[2:3], v[134:135], s[10:11], v[144:145] neg_lo:[0,0,1] neg_hi:[0,0,1]
	v_mov_b32_e32 v242, v108
	v_mov_b32_e32 v3, v109
	v_accvgpr_write_b32 a1, v37
	v_pk_add_f32 v[146:147], v[242:243], v[146:147]
	v_pk_fma_f32 v[36:37], v[136:137], s[40:41], v[148:149]
	v_pk_fma_f32 v[242:243], v[136:137], s[40:41], v[148:149] neg_lo:[1,0,0] neg_hi:[1,0,0]
	v_pk_add_f32 v[0:1], v[2:3], v[0:1]
	v_pk_fma_f32 v[2:3], v[136:137], s[40:41], v[148:149] neg_lo:[0,0,1] neg_hi:[0,0,1]
	v_mov_b32_e32 v242, v36
	v_mov_b32_e32 v3, v37
	v_pk_add_f32 v[146:147], v[242:243], v[146:147]
	v_pk_fma_f32 v[168:169], v[138:139], s[34:35], v[150:151]
	v_pk_fma_f32 v[242:243], v[138:139], s[34:35], v[150:151] neg_lo:[1,0,0] neg_hi:[1,0,0]
	v_pk_add_f32 v[0:1], v[2:3], v[0:1]
	v_pk_fma_f32 v[2:3], v[138:139], s[34:35], v[150:151] neg_lo:[0,0,1] neg_hi:[0,0,1]
	v_mov_b32_e32 v242, v168
	v_mov_b32_e32 v3, v169
	;; [unrolled: 7-line block ×3, first 2 shown]
	v_pk_add_f32 v[146:147], v[242:243], v[146:147]
	v_pk_add_f32 v[0:1], v[2:3], v[0:1]
	v_mov_b32_e32 v255, v39
	v_pk_fma_f32 v[2:3], v[128:129], s[40:41], v[118:119] neg_lo:[0,0,1] neg_hi:[0,0,1]
	ds_write2_b64 v172, v[146:147], v[0:1] offset0:8 offset1:9
	v_pk_add_f32 v[0:1], v[122:123], v[254:255]
	v_mov_b32_e32 v3, v107
	v_pk_add_f32 v[0:1], v[2:3], v[0:1]
	v_pk_fma_f32 v[2:3], v[130:131], s[2:3], v[120:121] neg_lo:[0,0,1] neg_hi:[0,0,1]
	v_mov_b32_e32 v225, v241
	v_mov_b32_e32 v3, v117
	v_pk_add_f32 v[0:1], v[2:3], v[0:1]
	v_pk_fma_f32 v[2:3], v[132:133], s[58:59], v[98:99] neg_lo:[0,0,1] neg_hi:[0,0,1]
	v_mov_b32_e32 v209, v207
	;; [unrolled: 4-line block ×3, first 2 shown]
	v_mov_b32_e32 v3, v105
	v_pk_add_f32 v[0:1], v[2:3], v[0:1]
	v_pk_fma_f32 v[2:3], v[136:137], s[16:17], v[102:103] neg_lo:[0,0,1] neg_hi:[0,0,1]
	v_accvgpr_read_b32 v125, a39
	v_mov_b32_e32 v3, v61
	v_pk_add_f32 v[0:1], v[2:3], v[0:1]
	v_pk_fma_f32 v[2:3], v[138:139], s[44:45], v[110:111] neg_lo:[0,0,1] neg_hi:[0,0,1]
	v_accvgpr_read_b32 v109, a15
	;; [unrolled: 4-line block ×3, first 2 shown]
	v_mov_b32_e32 v3, v5
	v_pk_fma_f32 v[4:5], v[128:129], s[22:23], v[226:227] neg_lo:[0,0,1] neg_hi:[0,0,1]
	v_pk_add_f32 v[0:1], v[2:3], v[0:1]
	v_pk_add_f32 v[2:3], v[122:123], v[224:225]
	v_mov_b32_e32 v5, v245
	v_pk_add_f32 v[2:3], v[4:5], v[2:3]
	v_pk_fma_f32 v[4:5], v[130:131], s[14:15], v[228:229] neg_lo:[0,0,1] neg_hi:[0,0,1]
	v_mov_b32_e32 v227, v77
	v_mov_b32_e32 v5, v247
	v_pk_add_f32 v[2:3], v[4:5], v[2:3]
	v_pk_fma_f32 v[4:5], v[132:133], s[18:19], v[230:231] neg_lo:[0,0,1] neg_hi:[0,0,1]
	v_mov_b32_e32 v77, v173
	v_mov_b32_e32 v5, v249
	v_pk_add_f32 v[2:3], v[4:5], v[2:3]
	v_pk_fma_f32 v[4:5], v[134:135], s[62:63], v[232:233] neg_lo:[0,0,1] neg_hi:[0,0,1]
	v_accvgpr_read_b32 v101, a9
	v_mov_b32_e32 v5, v251
	v_pk_add_f32 v[2:3], v[4:5], v[2:3]
	v_pk_fma_f32 v[4:5], v[136:137], s[26:27], v[234:235] neg_lo:[0,0,1] neg_hi:[0,0,1]
	v_accvgpr_read_b32 v107, a13
	;; [unrolled: 4-line block ×4, first 2 shown]
	v_mov_b32_e32 v5, v63
	v_pk_add_f32 v[2:3], v[4:5], v[2:3]
	ds_write2_b64 v172, v[0:1], v[2:3] offset0:10 offset1:11
	v_pk_fma_f32 v[2:3], v[128:129], s[30:31], v[204:205] neg_lo:[0,0,1] neg_hi:[0,0,1]
	v_pk_add_f32 v[0:1], v[122:123], v[208:209]
	v_mov_b32_e32 v3, v211
	v_pk_add_f32 v[0:1], v[2:3], v[0:1]
	v_pk_fma_f32 v[2:3], v[130:131], s[44:45], v[202:203] neg_lo:[0,0,1] neg_hi:[0,0,1]
	v_pk_fma_f32 v[4:5], v[128:129], s[16:17], v[66:67] neg_lo:[0,0,1] neg_hi:[0,0,1]
	v_mov_b32_e32 v3, v213
	v_pk_add_f32 v[0:1], v[2:3], v[0:1]
	v_pk_fma_f32 v[2:3], v[132:133], s[20:21], v[200:201] neg_lo:[0,0,1] neg_hi:[0,0,1]
	v_mov_b32_e32 v5, v179
	v_mov_b32_e32 v3, v215
	v_pk_add_f32 v[0:1], v[2:3], v[0:1]
	v_pk_fma_f32 v[2:3], v[134:135], s[16:17], v[196:197] neg_lo:[0,0,1] neg_hi:[0,0,1]
	v_accvgpr_read_b32 v239, a21
	v_mov_b32_e32 v3, v217
	v_pk_add_f32 v[0:1], v[2:3], v[0:1]
	v_pk_fma_f32 v[2:3], v[136:137], s[62:63], v[198:199] neg_lo:[0,0,1] neg_hi:[0,0,1]
	v_accvgpr_read_b32 v242, a28
	;; [unrolled: 4-line block ×4, first 2 shown]
	v_mov_b32_e32 v3, v223
	v_pk_add_f32 v[0:1], v[2:3], v[0:1]
	v_pk_add_f32 v[2:3], v[122:123], v[176:177]
	v_accvgpr_read_b32 v108, a14
	v_pk_add_f32 v[2:3], v[4:5], v[2:3]
	v_pk_fma_f32 v[4:5], v[130:131], s[22:23], v[68:69] neg_lo:[0,0,1] neg_hi:[0,0,1]
	v_accvgpr_read_b32 v126, a40
	v_mov_b32_e32 v5, v181
	v_pk_add_f32 v[2:3], v[4:5], v[2:3]
	v_pk_fma_f32 v[4:5], v[132:133], s[28:29], v[70:71] neg_lo:[0,0,1] neg_hi:[0,0,1]
	v_accvgpr_read_b32 v100, a8
	v_mov_b32_e32 v5, v183
	;; [unrolled: 4-line block ×6, first 2 shown]
	v_pk_add_f32 v[2:3], v[4:5], v[2:3]
	ds_write2_b64 v172, v[0:1], v[2:3] offset0:12 offset1:13
	v_pk_fma_f32 v[2:3], v[128:129], s[10:11], v[174:175] neg_lo:[0,0,1] neg_hi:[0,0,1]
	v_pk_add_f32 v[0:1], v[122:123], v[76:77]
	v_accvgpr_read_b32 v3, a1
	v_pk_add_f32 v[0:1], v[2:3], v[0:1]
	v_pk_fma_f32 v[2:3], v[130:131], s[46:47], v[72:73] neg_lo:[0,0,1] neg_hi:[0,0,1]
	v_accvgpr_read_b32 v104, a10
	v_mov_b32_e32 v3, v81
	v_pk_add_f32 v[0:1], v[2:3], v[0:1]
	v_accvgpr_read_b32 v2, a42
	v_accvgpr_read_b32 v3, a43
	v_pk_fma_f32 v[2:3], v[132:133], s[22:23], v[2:3] neg_lo:[0,0,1] neg_hi:[0,0,1]
	v_mov_b32_e32 v103, v64
	v_mov_b32_e32 v3, v83
	v_pk_add_f32 v[0:1], v[2:3], v[0:1]
	v_pk_fma_f32 v[2:3], v[134:135], s[44:45], v[74:75] neg_lo:[0,0,1] neg_hi:[0,0,1]
	v_mov_b32_e32 v102, v62
	v_mov_b32_e32 v3, v85
	v_pk_add_f32 v[0:1], v[2:3], v[0:1]
	v_accvgpr_read_b32 v2, a44
	v_accvgpr_read_b32 v3, a45
	v_pk_fma_f32 v[2:3], v[136:137], s[14:15], v[2:3] neg_lo:[0,0,1] neg_hi:[0,0,1]
	v_mov_b32_e32 v111, v78
	v_mov_b32_e32 v3, v87
	v_pk_add_f32 v[0:1], v[2:3], v[0:1]
	v_accvgpr_read_b32 v2, a46
	v_accvgpr_read_b32 v3, a47
	v_pk_fma_f32 v[2:3], v[138:139], s[2:3], v[2:3] neg_lo:[0,0,1] neg_hi:[0,0,1]
	v_mov_b32_e32 v115, v38
	v_mov_b32_e32 v3, v89
	v_pk_add_f32 v[0:1], v[2:3], v[0:1]
	v_accvgpr_read_b32 v2, a48
	v_accvgpr_read_b32 v3, a49
	v_pk_fma_f32 v[2:3], v[140:141], s[18:19], v[2:3] neg_lo:[0,0,1] neg_hi:[0,0,1]
	v_accvgpr_read_b32 v112, a16
	v_mov_b32_e32 v3, v91
	v_accvgpr_read_b32 v240, a24
	v_accvgpr_read_b32 v116, a22
	v_accvgpr_read_b32 v244, a32
	v_accvgpr_read_b32 v110, a30
	v_accvgpr_read_b32 v120, a36
	v_accvgpr_read_b32 v118, a34
	v_accvgpr_read_b32 v230, a0
	v_accvgpr_read_b32 v232, a2
	v_accvgpr_read_b32 v234, a4
	v_accvgpr_read_b32 v236, a18
	v_accvgpr_read_b32 v238, a20
	v_pk_add_f32 v[0:1], v[2:3], v[0:1]
	ds_write2_b64 v172, v[0:1], v[126:127] offset0:14 offset1:15
	ds_write_b64 v172, a[38:39] offset:128
.LBB0_17:
	s_or_b64 exec, exec, s[24:25]
	v_add_u32_e32 v0, 0x400, v97
	s_waitcnt lgkmcnt(0)
	s_barrier
	ds_read2_b64 v[60:63], v0 offset0:42 offset1:144
	v_add_u32_e32 v0, 0x1000, v97
	ds_read2_b64 v[84:87], v0 offset0:32 offset1:117
	v_add_u32_e32 v0, 0x1400, v97
	;; [unrolled: 2-line block ×5, first 2 shown]
	ds_read2_b64 v[76:79], v97 offset1:85
	ds_read2_b64 v[68:71], v0 offset0:133 offset1:218
	ds_read_b64 v[134:135], v97 offset:10064
	v_mov_b32_e32 v152, v8
	v_mov_b32_e32 v153, v8
	;; [unrolled: 1-line block ×36, first 2 shown]
	s_and_saveexec_b64 s[2:3], s[0:1]
	s_cbranch_execz .LBB0_19
; %bb.18:
	ds_read_b64 v[126:127], v97 offset:2040
	ds_read_b64 v[124:125], v97 offset:4216
	;; [unrolled: 1-line block ×5, first 2 shown]
.LBB0_19:
	s_or_b64 exec, exec, s[2:3]
	s_waitcnt lgkmcnt(7)
	v_pk_mul_f32 v[0:1], v[8:9], v[62:63]
	s_waitcnt lgkmcnt(6)
	v_pk_mul_f32 v[2:3], v[10:11], v[84:85]
	;; [unrolled: 2-line block ×4, first 2 shown]
	v_pk_mul_f32 v[20:21], v[24:25], v[74:75]
	v_pk_fma_f32 v[24:25], v[152:153], v[62:63], v[0:1] op_sel:[0,0,1] op_sel_hi:[1,1,0]
	v_pk_fma_f32 v[0:1], v[152:153], v[62:63], v[0:1] op_sel:[0,0,1] op_sel_hi:[1,1,0] neg_lo:[0,0,1] neg_hi:[0,0,1]
	v_pk_mul_f32 v[6:7], v[14:15], v[80:81]
	v_mov_b32_e32 v25, v1
	v_pk_fma_f32 v[0:1], v[150:151], v[84:85], v[2:3] op_sel:[0,0,1] op_sel_hi:[1,1,0]
	v_pk_fma_f32 v[2:3], v[150:151], v[84:85], v[2:3] op_sel:[0,0,1] op_sel_hi:[1,1,0] neg_lo:[0,0,1] neg_hi:[0,0,1]
	v_pk_mul_f32 v[8:9], v[28:29], v[72:73]
	v_mov_b32_e32 v1, v3
	;; [unrolled: 4-line block ×4, first 2 shown]
	v_pk_add_f32 v[26:27], v[0:1], v[2:3]
	v_pk_add_f32 v[28:29], v[24:25], v[4:5] neg_lo:[0,1] neg_hi:[0,1]
	s_mov_b32 s2, 0x3f737871
	v_pk_mul_f32 v[10:11], v[30:31], v[86:87]
	v_pk_fma_f32 v[26:27], v[26:27], 0.5, v[76:77] op_sel_hi:[1,0,1] neg_lo:[1,0,0] neg_hi:[1,0,0]
	v_pk_mul_f32 v[30:31], v[28:29], s[2:3] op_sel_hi:[1,0]
	v_pk_add_f32 v[36:37], v[0:1], v[2:3] neg_lo:[0,1] neg_hi:[0,1]
	s_mov_b32 s10, 0x3f167918
	v_pk_add_f32 v[62:63], v[24:25], v[0:1] neg_lo:[0,1] neg_hi:[0,1]
	v_pk_add_f32 v[66:67], v[4:5], v[2:3] neg_lo:[0,1] neg_hi:[0,1]
	v_pk_add_f32 v[6:7], v[76:77], v[24:25]
	v_pk_mul_f32 v[38:39], v[36:37], s[10:11] op_sel_hi:[1,0]
	v_pk_add_f32 v[62:63], v[62:63], v[66:67]
	v_pk_add_f32 v[66:67], v[26:27], v[30:31] op_sel:[0,1] op_sel_hi:[1,0] neg_lo:[0,1] neg_hi:[0,1]
	v_pk_add_f32 v[26:27], v[26:27], v[30:31] op_sel:[0,1] op_sel_hi:[1,0]
	v_pk_add_f32 v[6:7], v[6:7], v[0:1]
	v_pk_add_f32 v[26:27], v[26:27], v[38:39] op_sel:[0,1] op_sel_hi:[1,0]
	v_pk_add_f32 v[30:31], v[66:67], v[38:39] op_sel:[0,1] op_sel_hi:[1,0] neg_lo:[0,1] neg_hi:[0,1]
	v_pk_add_f32 v[6:7], v[6:7], v[2:3]
	s_mov_b32 s14, 0x3e9e377a
	v_mov_b32_e32 v38, v30
	v_mov_b32_e32 v39, v27
	v_pk_add_f32 v[6:7], v[6:7], v[4:5]
	v_pk_fma_f32 v[38:39], v[62:63], s[14:15], v[38:39] op_sel_hi:[1,0,1]
	s_waitcnt lgkmcnt(0)
	s_barrier
	ds_write2_b64 v103, v[6:7], v[38:39] offset1:17
	v_pk_add_f32 v[6:7], v[24:25], v[4:5]
	v_pk_add_f32 v[0:1], v[0:1], v[24:25] neg_lo:[0,1] neg_hi:[0,1]
	v_pk_add_f32 v[2:3], v[2:3], v[4:5] neg_lo:[0,1] neg_hi:[0,1]
	v_pk_fma_f32 v[6:7], v[6:7], 0.5, v[76:77] op_sel_hi:[1,0,1] neg_lo:[1,0,0] neg_hi:[1,0,0]
	v_pk_add_f32 v[0:1], v[0:1], v[2:3]
	v_pk_mul_f32 v[2:3], v[36:37], s[2:3] op_sel_hi:[1,0]
	v_pk_mul_f32 v[4:5], v[28:29], s[10:11] op_sel_hi:[1,0]
	v_pk_add_f32 v[24:25], v[6:7], v[2:3] op_sel:[0,1] op_sel_hi:[1,0]
	v_pk_add_f32 v[2:3], v[6:7], v[2:3] op_sel:[0,1] op_sel_hi:[1,0] neg_lo:[0,1] neg_hi:[0,1]
	v_mov_b32_e32 v27, v31
	v_pk_add_f32 v[2:3], v[2:3], v[4:5] op_sel:[0,1] op_sel_hi:[1,0]
	v_pk_add_f32 v[4:5], v[24:25], v[4:5] op_sel:[0,1] op_sel_hi:[1,0] neg_lo:[0,1] neg_hi:[0,1]
	v_mov_b32_e32 v7, v3
	v_mov_b32_e32 v6, v4
	;; [unrolled: 1-line block ×3, first 2 shown]
	v_pk_fma_f32 v[6:7], v[0:1], s[14:15], v[6:7] op_sel_hi:[1,0,1]
	v_pk_fma_f32 v[0:1], v[0:1], s[14:15], v[2:3] op_sel_hi:[1,0,1]
	ds_write2_b64 v103, v[6:7], v[0:1] offset0:34 offset1:51
	v_pk_fma_f32 v[0:1], v[62:63], s[14:15], v[26:27] op_sel_hi:[1,0,1]
	ds_write_b64 v103, v[0:1] offset:544
	v_pk_fma_f32 v[0:1], v[144:145], v[72:73], v[8:9] op_sel:[0,0,1] op_sel_hi:[1,1,0]
	v_pk_fma_f32 v[2:3], v[144:145], v[72:73], v[8:9] op_sel:[0,0,1] op_sel_hi:[1,1,0] neg_lo:[0,0,1] neg_hi:[0,0,1]
	v_pk_fma_f32 v[4:5], v[142:143], v[86:87], v[10:11] op_sel:[0,0,1] op_sel_hi:[1,1,0] neg_lo:[0,0,1] neg_hi:[0,0,1]
	v_mov_b32_e32 v1, v3
	v_pk_fma_f32 v[2:3], v[142:143], v[86:87], v[10:11] op_sel:[0,0,1] op_sel_hi:[1,1,0]
	v_pk_fma_f32 v[6:7], v[140:141], v[68:69], v[12:13] op_sel:[0,0,1] op_sel_hi:[1,1,0] neg_lo:[0,0,1] neg_hi:[0,0,1]
	v_mov_b32_e32 v3, v5
	v_pk_fma_f32 v[4:5], v[140:141], v[68:69], v[12:13] op_sel:[0,0,1] op_sel_hi:[1,1,0]
	;; [unrolled: 3-line block ×3, first 2 shown]
	v_pk_add_f32 v[10:11], v[2:3], v[4:5]
	v_mov_b32_e32 v7, v9
	v_pk_add_f32 v[12:13], v[0:1], v[6:7] neg_lo:[0,1] neg_hi:[0,1]
	v_pk_fma_f32 v[10:11], v[10:11], 0.5, v[78:79] op_sel_hi:[1,0,1] neg_lo:[1,0,0] neg_hi:[1,0,0]
	v_pk_mul_f32 v[14:15], v[12:13], s[2:3] op_sel_hi:[1,0]
	v_pk_add_f32 v[24:25], v[2:3], v[4:5] neg_lo:[0,1] neg_hi:[0,1]
	v_pk_add_f32 v[28:29], v[0:1], v[2:3] neg_lo:[0,1] neg_hi:[0,1]
	v_pk_add_f32 v[30:31], v[6:7], v[4:5] neg_lo:[0,1] neg_hi:[0,1]
	v_pk_add_f32 v[8:9], v[78:79], v[0:1]
	v_pk_mul_f32 v[26:27], v[24:25], s[10:11] op_sel_hi:[1,0]
	v_pk_add_f32 v[28:29], v[28:29], v[30:31]
	v_pk_add_f32 v[30:31], v[10:11], v[14:15] op_sel:[0,1] op_sel_hi:[1,0] neg_lo:[0,1] neg_hi:[0,1]
	v_pk_add_f32 v[10:11], v[10:11], v[14:15] op_sel:[0,1] op_sel_hi:[1,0]
	v_pk_add_f32 v[8:9], v[8:9], v[2:3]
	v_pk_add_f32 v[10:11], v[10:11], v[26:27] op_sel:[0,1] op_sel_hi:[1,0]
	v_pk_add_f32 v[14:15], v[30:31], v[26:27] op_sel:[0,1] op_sel_hi:[1,0] neg_lo:[0,1] neg_hi:[0,1]
	v_pk_add_f32 v[8:9], v[8:9], v[4:5]
	v_mov_b32_e32 v26, v14
	v_mov_b32_e32 v27, v11
	v_pk_add_f32 v[8:9], v[8:9], v[6:7]
	v_pk_fma_f32 v[26:27], v[28:29], s[14:15], v[26:27] op_sel_hi:[1,0,1]
	ds_write2_b64 v111, v[8:9], v[26:27] offset1:17
	v_pk_add_f32 v[8:9], v[0:1], v[6:7]
	v_pk_add_f32 v[0:1], v[2:3], v[0:1] neg_lo:[0,1] neg_hi:[0,1]
	v_pk_add_f32 v[2:3], v[4:5], v[6:7] neg_lo:[0,1] neg_hi:[0,1]
	v_pk_fma_f32 v[8:9], v[8:9], 0.5, v[78:79] op_sel_hi:[1,0,1] neg_lo:[1,0,0] neg_hi:[1,0,0]
	v_pk_add_f32 v[0:1], v[0:1], v[2:3]
	v_pk_mul_f32 v[2:3], v[24:25], s[2:3] op_sel_hi:[1,0]
	v_pk_mul_f32 v[4:5], v[12:13], s[10:11] op_sel_hi:[1,0]
	v_pk_add_f32 v[6:7], v[8:9], v[2:3] op_sel:[0,1] op_sel_hi:[1,0]
	v_pk_add_f32 v[2:3], v[8:9], v[2:3] op_sel:[0,1] op_sel_hi:[1,0] neg_lo:[0,1] neg_hi:[0,1]
	v_mov_b32_e32 v11, v15
	v_pk_add_f32 v[2:3], v[2:3], v[4:5] op_sel:[0,1] op_sel_hi:[1,0]
	v_pk_add_f32 v[4:5], v[6:7], v[4:5] op_sel:[0,1] op_sel_hi:[1,0] neg_lo:[0,1] neg_hi:[0,1]
	v_mov_b32_e32 v7, v3
	v_mov_b32_e32 v6, v4
	;; [unrolled: 1-line block ×3, first 2 shown]
	v_pk_fma_f32 v[6:7], v[0:1], s[14:15], v[6:7] op_sel_hi:[1,0,1]
	v_pk_fma_f32 v[0:1], v[0:1], s[14:15], v[2:3] op_sel_hi:[1,0,1]
	ds_write2_b64 v111, v[6:7], v[0:1] offset0:34 offset1:51
	v_pk_fma_f32 v[0:1], v[28:29], s[14:15], v[10:11] op_sel_hi:[1,0,1]
	ds_write_b64 v111, v[0:1] offset:544
	v_pk_fma_f32 v[0:1], v[132:133], v[74:75], v[20:21] op_sel:[0,0,1] op_sel_hi:[1,1,0]
	v_pk_fma_f32 v[2:3], v[132:133], v[74:75], v[20:21] op_sel:[0,0,1] op_sel_hi:[1,1,0] neg_lo:[0,0,1] neg_hi:[0,0,1]
	v_pk_mul_f32 v[16:17], v[16:17], v[70:71]
	v_mov_b32_e32 v1, v3
	v_pk_fma_f32 v[2:3], v[130:131], v[64:65], v[22:23] op_sel:[0,0,1] op_sel_hi:[1,1,0]
	v_pk_fma_f32 v[4:5], v[130:131], v[64:65], v[22:23] op_sel:[0,0,1] op_sel_hi:[1,1,0] neg_lo:[0,0,1] neg_hi:[0,0,1]
	v_pk_mul_f32 v[18:19], v[18:19], v[134:135]
	v_mov_b32_e32 v3, v5
	v_pk_fma_f32 v[4:5], v[128:129], v[70:71], v[16:17] op_sel:[0,0,1] op_sel_hi:[1,1,0]
	v_pk_fma_f32 v[6:7], v[128:129], v[70:71], v[16:17] op_sel:[0,0,1] op_sel_hi:[1,1,0] neg_lo:[0,0,1] neg_hi:[0,0,1]
	v_pk_fma_f32 v[8:9], v[136:137], v[134:135], v[18:19] op_sel:[0,0,1] op_sel_hi:[1,1,0] neg_lo:[0,0,1] neg_hi:[0,0,1]
	v_mov_b32_e32 v5, v7
	v_pk_fma_f32 v[6:7], v[136:137], v[134:135], v[18:19] op_sel:[0,0,1] op_sel_hi:[1,1,0]
	v_pk_add_f32 v[10:11], v[2:3], v[4:5]
	v_mov_b32_e32 v7, v9
	v_pk_add_f32 v[12:13], v[0:1], v[6:7] neg_lo:[0,1] neg_hi:[0,1]
	v_pk_fma_f32 v[10:11], v[10:11], 0.5, v[60:61] op_sel_hi:[1,0,1] neg_lo:[1,0,0] neg_hi:[1,0,0]
	v_pk_mul_f32 v[14:15], v[12:13], s[2:3] op_sel_hi:[1,0]
	v_pk_add_f32 v[16:17], v[2:3], v[4:5] neg_lo:[0,1] neg_hi:[0,1]
	v_pk_add_f32 v[20:21], v[0:1], v[2:3] neg_lo:[0,1] neg_hi:[0,1]
	;; [unrolled: 1-line block ×3, first 2 shown]
	v_pk_add_f32 v[8:9], v[60:61], v[0:1]
	v_pk_mul_f32 v[18:19], v[16:17], s[10:11] op_sel_hi:[1,0]
	v_pk_add_f32 v[20:21], v[20:21], v[22:23]
	v_pk_add_f32 v[22:23], v[10:11], v[14:15] op_sel:[0,1] op_sel_hi:[1,0] neg_lo:[0,1] neg_hi:[0,1]
	v_pk_add_f32 v[10:11], v[10:11], v[14:15] op_sel:[0,1] op_sel_hi:[1,0]
	v_pk_add_f32 v[8:9], v[8:9], v[2:3]
	v_pk_add_f32 v[10:11], v[10:11], v[18:19] op_sel:[0,1] op_sel_hi:[1,0]
	v_pk_add_f32 v[14:15], v[22:23], v[18:19] op_sel:[0,1] op_sel_hi:[1,0] neg_lo:[0,1] neg_hi:[0,1]
	v_pk_add_f32 v[8:9], v[8:9], v[4:5]
	v_mov_b32_e32 v18, v14
	v_mov_b32_e32 v19, v11
	v_pk_add_f32 v[8:9], v[8:9], v[6:7]
	v_pk_fma_f32 v[18:19], v[20:21], s[14:15], v[18:19] op_sel_hi:[1,0,1]
	ds_write2_b64 v115, v[8:9], v[18:19] offset1:17
	v_pk_add_f32 v[8:9], v[0:1], v[6:7]
	v_pk_add_f32 v[0:1], v[2:3], v[0:1] neg_lo:[0,1] neg_hi:[0,1]
	v_pk_add_f32 v[2:3], v[4:5], v[6:7] neg_lo:[0,1] neg_hi:[0,1]
	v_pk_fma_f32 v[8:9], v[8:9], 0.5, v[60:61] op_sel_hi:[1,0,1] neg_lo:[1,0,0] neg_hi:[1,0,0]
	v_pk_add_f32 v[0:1], v[0:1], v[2:3]
	v_pk_mul_f32 v[2:3], v[16:17], s[2:3] op_sel_hi:[1,0]
	v_pk_mul_f32 v[4:5], v[12:13], s[10:11] op_sel_hi:[1,0]
	v_pk_add_f32 v[6:7], v[8:9], v[2:3] op_sel:[0,1] op_sel_hi:[1,0]
	v_pk_add_f32 v[2:3], v[8:9], v[2:3] op_sel:[0,1] op_sel_hi:[1,0] neg_lo:[0,1] neg_hi:[0,1]
	v_mov_b32_e32 v11, v15
	v_pk_add_f32 v[2:3], v[2:3], v[4:5] op_sel:[0,1] op_sel_hi:[1,0]
	v_pk_add_f32 v[4:5], v[6:7], v[4:5] op_sel:[0,1] op_sel_hi:[1,0] neg_lo:[0,1] neg_hi:[0,1]
	v_mov_b32_e32 v7, v3
	v_mov_b32_e32 v6, v4
	;; [unrolled: 1-line block ×3, first 2 shown]
	v_pk_fma_f32 v[6:7], v[0:1], s[14:15], v[6:7] op_sel_hi:[1,0,1]
	v_pk_fma_f32 v[0:1], v[0:1], s[14:15], v[2:3] op_sel_hi:[1,0,1]
	v_mov_b32_e32 v122, v42
	v_mov_b32_e32 v123, v42
	;; [unrolled: 1-line block ×9, first 2 shown]
	ds_write2_b64 v115, v[6:7], v[0:1] offset0:34 offset1:51
	v_pk_fma_f32 v[0:1], v[20:21], s[14:15], v[10:11] op_sel_hi:[1,0,1]
	ds_write_b64 v115, v[0:1] offset:544
	s_and_saveexec_b64 s[16:17], s[0:1]
	s_cbranch_execz .LBB0_21
; %bb.20:
	v_pk_mul_f32 v[0:1], v[106:107], v[236:237] op_sel:[0,1]
	v_pk_mul_f32 v[2:3], v[104:105], v[124:125] op_sel:[0,1]
	v_pk_fma_f32 v[8:9], v[106:107], v[236:237], v[0:1] op_sel:[0,0,1] op_sel_hi:[1,1,0]
	v_pk_fma_f32 v[0:1], v[106:107], v[236:237], v[0:1] op_sel:[0,0,1] op_sel_hi:[1,0,0] neg_lo:[1,0,0] neg_hi:[1,0,0]
	v_pk_mul_f32 v[4:5], v[98:99], v[112:113] op_sel:[0,1]
	v_mov_b32_e32 v9, v1
	v_pk_fma_f32 v[0:1], v[104:105], v[124:125], v[2:3] op_sel:[0,0,1] op_sel_hi:[1,1,0]
	v_pk_fma_f32 v[2:3], v[104:105], v[124:125], v[2:3] op_sel:[0,0,1] op_sel_hi:[1,0,0] neg_lo:[1,0,0] neg_hi:[1,0,0]
	v_pk_mul_f32 v[6:7], v[100:101], v[108:109] op_sel:[0,1]
	v_mov_b32_e32 v1, v3
	v_pk_fma_f32 v[2:3], v[98:99], v[112:113], v[4:5] op_sel:[0,0,1] op_sel_hi:[1,1,0]
	v_pk_fma_f32 v[4:5], v[98:99], v[112:113], v[4:5] op_sel:[0,0,1] op_sel_hi:[1,0,0] neg_lo:[1,0,0] neg_hi:[1,0,0]
	v_pk_add_f32 v[14:15], v[0:1], v[8:9] neg_lo:[0,1] neg_hi:[0,1]
	v_mov_b32_e32 v3, v5
	v_pk_fma_f32 v[4:5], v[100:101], v[108:109], v[6:7] op_sel:[0,0,1] op_sel_hi:[1,1,0]
	v_pk_fma_f32 v[6:7], v[100:101], v[108:109], v[6:7] op_sel:[0,0,1] op_sel_hi:[1,0,0] neg_lo:[1,0,0] neg_hi:[1,0,0]
	v_pk_add_f32 v[12:13], v[8:9], v[2:3]
	v_mov_b32_e32 v5, v7
	v_pk_add_f32 v[10:11], v[0:1], v[4:5] neg_lo:[0,1] neg_hi:[0,1]
	v_pk_fma_f32 v[12:13], v[12:13], 0.5, v[126:127] op_sel_hi:[1,0,1] neg_lo:[1,0,0] neg_hi:[1,0,0]
	v_pk_add_f32 v[16:17], v[4:5], v[2:3] neg_lo:[0,1] neg_hi:[0,1]
	v_pk_add_f32 v[6:7], v[8:9], v[2:3] neg_lo:[0,1] neg_hi:[0,1]
	v_pk_add_f32 v[14:15], v[14:15], v[16:17]
	v_pk_fma_f32 v[16:17], v[10:11], s[2:3], v[12:13] op_sel:[1,0,0] op_sel_hi:[0,0,1]
	v_pk_fma_f32 v[12:13], v[10:11], s[2:3], v[12:13] op_sel:[1,0,0] op_sel_hi:[0,0,1] neg_lo:[1,0,0] neg_hi:[1,0,0]
	v_pk_add_f32 v[20:21], v[126:127], v[0:1]
	v_pk_fma_f32 v[12:13], v[6:7], s[10:11], v[12:13] op_sel:[1,0,0] op_sel_hi:[0,0,1] neg_lo:[1,0,0] neg_hi:[1,0,0]
	v_pk_fma_f32 v[16:17], v[6:7], s[10:11], v[16:17] op_sel:[1,0,0] op_sel_hi:[0,0,1]
	v_pk_add_f32 v[20:21], v[20:21], v[8:9]
	v_lshl_add_u32 v22, v102, 3, v227
	v_mov_b32_e32 v18, v16
	v_mov_b32_e32 v19, v13
	v_pk_add_f32 v[20:21], v[20:21], v[2:3]
	v_mov_b32_e32 v13, v17
	v_pk_fma_f32 v[18:19], v[14:15], s[14:15], v[18:19] op_sel_hi:[1,0,1]
	v_pk_add_f32 v[20:21], v[20:21], v[4:5]
	v_pk_fma_f32 v[12:13], v[14:15], s[14:15], v[12:13] op_sel_hi:[1,0,1]
	v_add_u32_e32 v14, 0x2400, v22
	ds_write2_b64 v14, v[20:21], v[12:13] offset0:123 offset1:140
	v_pk_add_f32 v[12:13], v[0:1], v[4:5]
	v_pk_add_f32 v[0:1], v[8:9], v[0:1] neg_lo:[0,1] neg_hi:[0,1]
	v_pk_fma_f32 v[12:13], v[12:13], 0.5, v[126:127] op_sel_hi:[1,0,1] neg_lo:[1,0,0] neg_hi:[1,0,0]
	v_pk_add_f32 v[2:3], v[2:3], v[4:5] neg_lo:[0,1] neg_hi:[0,1]
	v_pk_fma_f32 v[4:5], v[6:7], s[2:3], v[12:13] op_sel:[1,0,0] op_sel_hi:[0,0,1]
	v_pk_add_f32 v[0:1], v[0:1], v[2:3]
	v_pk_fma_f32 v[2:3], v[6:7], s[2:3], v[12:13] op_sel:[1,0,0] op_sel_hi:[0,0,1] neg_lo:[1,0,0] neg_hi:[1,0,0]
	v_pk_fma_f32 v[4:5], v[10:11], s[10:11], v[4:5] op_sel:[1,0,0] op_sel_hi:[0,0,1] neg_lo:[1,0,0] neg_hi:[1,0,0]
	v_pk_fma_f32 v[2:3], v[10:11], s[10:11], v[2:3] op_sel:[1,0,0] op_sel_hi:[0,0,1]
	v_mov_b32_e32 v6, v2
	v_mov_b32_e32 v7, v5
	;; [unrolled: 1-line block ×3, first 2 shown]
	v_pk_fma_f32 v[6:7], v[0:1], s[14:15], v[6:7] op_sel_hi:[1,0,1]
	v_pk_fma_f32 v[0:1], v[0:1], s[14:15], v[4:5] op_sel_hi:[1,0,1]
	v_add_u32_e32 v2, 0x2800, v22
	ds_write2_b64 v2, v[0:1], v[6:7] offset0:29 offset1:46
	ds_write_b64 v22, v[18:19] offset:10744
.LBB0_21:
	s_or_b64 exec, exec, s[16:17]
	s_waitcnt lgkmcnt(0)
	s_barrier
	ds_read2_b64 v[0:3], v97 offset1:85
	v_add_u32_e32 v4, 0x400, v97
	v_add_u32_e32 v8, 0x800, v97
	;; [unrolled: 1-line block ×6, first 2 shown]
	ds_read2_b64 v[4:7], v4 offset0:127 offset1:212
	ds_read2_b64 v[8:11], v8 offset0:169 offset1:254
	;; [unrolled: 1-line block ×6, first 2 shown]
	ds_read_b64 v[28:29], v97 offset:1360
	ds_read_b64 v[30:31], v97 offset:10200
	s_waitcnt lgkmcnt(8)
	v_pk_mul_f32 v[36:37], v[242:243], v[2:3] op_sel_hi:[0,1]
	v_pk_fma_f32 v[38:39], v[44:45], v[2:3], v[36:37] op_sel:[0,0,1] op_sel_hi:[1,1,0]
	v_pk_fma_f32 v[2:3], v[44:45], v[2:3], v[36:37] op_sel:[0,0,1] op_sel_hi:[0,1,0] neg_lo:[0,0,1] neg_hi:[0,0,1]
	v_mov_b32_e32 v39, v3
	s_waitcnt lgkmcnt(1)
	v_pk_mul_f32 v[2:3], v[244:245], v[28:29] op_sel_hi:[0,1]
	v_pk_fma_f32 v[36:37], v[46:47], v[28:29], v[2:3] op_sel:[0,0,1] op_sel_hi:[1,1,0]
	v_pk_fma_f32 v[2:3], v[46:47], v[28:29], v[2:3] op_sel:[0,0,1] op_sel_hi:[0,1,0] neg_lo:[0,0,1] neg_hi:[0,0,1]
	v_mov_b32_e32 v37, v3
	v_pk_mul_f32 v[2:3], v[40:41], v[4:5] op_sel:[1,0]
	s_mov_b32 s0, 0x3f3504f3
	v_pk_fma_f32 v[28:29], v[40:41], v[4:5], v[2:3] op_sel:[0,0,1] op_sel_hi:[1,1,0]
	v_pk_fma_f32 v[2:3], v[40:41], v[4:5], v[2:3] op_sel:[0,0,1] op_sel_hi:[0,1,0] neg_lo:[0,0,1] neg_hi:[0,0,1]
	v_mov_b32_e32 v29, v3
	v_pk_mul_f32 v[2:3], v[42:43], v[6:7]
	s_mov_b32 s10, 0x3f6c835e
	v_pk_fma_f32 v[4:5], v[122:123], v[6:7], v[2:3] op_sel:[0,0,1] op_sel_hi:[1,1,0]
	v_pk_fma_f32 v[2:3], v[122:123], v[6:7], v[2:3] op_sel:[0,0,1] op_sel_hi:[1,1,0] neg_lo:[0,0,1] neg_hi:[0,0,1]
	s_mov_b32 s14, 0x3ec3ef15
	v_mov_b32_e32 v5, v3
	v_pk_mul_f32 v[2:3], v[116:117], v[8:9] op_sel_hi:[0,1]
	v_pk_fma_f32 v[6:7], v[92:93], v[8:9], v[2:3] op_sel:[0,0,1] op_sel_hi:[1,1,0]
	v_pk_fma_f32 v[2:3], v[92:93], v[8:9], v[2:3] op_sel:[0,0,1] op_sel_hi:[0,1,0] neg_lo:[0,0,1] neg_hi:[0,0,1]
	v_mov_b32_e32 v7, v3
	v_pk_mul_f32 v[2:3], v[240:241], v[10:11] op_sel_hi:[0,1]
	v_pk_fma_f32 v[8:9], v[94:95], v[10:11], v[2:3] op_sel:[0,0,1] op_sel_hi:[1,1,0]
	v_pk_fma_f32 v[2:3], v[94:95], v[10:11], v[2:3] op_sel:[0,0,1] op_sel_hi:[0,1,0] neg_lo:[0,0,1] neg_hi:[0,0,1]
	v_mov_b32_e32 v9, v3
	v_pk_mul_f32 v[2:3], v[32:33], v[12:13] op_sel:[1,0]
	s_movk_i32 s3, 0x1000
	v_pk_fma_f32 v[10:11], v[32:33], v[12:13], v[2:3] op_sel:[0,0,1] op_sel_hi:[1,1,0]
	v_pk_fma_f32 v[2:3], v[32:33], v[12:13], v[2:3] op_sel:[0,0,1] op_sel_hi:[0,1,0] neg_lo:[0,0,1] neg_hi:[0,0,1]
	v_mov_b32_e32 v11, v3
	v_pk_mul_f32 v[2:3], v[34:35], v[14:15]
	s_movk_i32 s2, 0x2000
	v_pk_fma_f32 v[12:13], v[90:91], v[14:15], v[2:3] op_sel:[0,0,1] op_sel_hi:[1,1,0]
	v_pk_fma_f32 v[2:3], v[90:91], v[14:15], v[2:3] op_sel:[0,0,1] op_sel_hi:[1,1,0] neg_lo:[0,0,1] neg_hi:[0,0,1]
	s_nop 0
	v_mov_b32_e32 v13, v3
	v_pk_mul_f32 v[2:3], v[110:111], v[16:17] op_sel_hi:[0,1]
	v_pk_fma_f32 v[14:15], v[56:57], v[16:17], v[2:3] op_sel:[0,0,1] op_sel_hi:[1,1,0]
	v_pk_fma_f32 v[2:3], v[56:57], v[16:17], v[2:3] op_sel:[0,0,1] op_sel_hi:[0,1,0] neg_lo:[0,0,1] neg_hi:[0,0,1]
	v_mov_b32_e32 v15, v3
	v_pk_mul_f32 v[2:3], v[120:121], v[18:19] op_sel_hi:[0,1]
	v_pk_fma_f32 v[16:17], v[58:59], v[18:19], v[2:3] op_sel:[0,0,1] op_sel_hi:[1,1,0]
	v_pk_fma_f32 v[2:3], v[58:59], v[18:19], v[2:3] op_sel:[0,0,1] op_sel_hi:[0,1,0] neg_lo:[0,0,1] neg_hi:[0,0,1]
	v_mov_b32_e32 v17, v3
	v_pk_mul_f32 v[2:3], v[52:53], v[20:21] op_sel:[1,0]
	v_pk_add_f32 v[16:17], v[36:37], v[16:17] neg_lo:[0,1] neg_hi:[0,1]
	v_pk_fma_f32 v[18:19], v[52:53], v[20:21], v[2:3] op_sel:[0,0,1] op_sel_hi:[1,1,0]
	v_pk_fma_f32 v[2:3], v[52:53], v[20:21], v[2:3] op_sel:[0,0,1] op_sel_hi:[0,1,0] neg_lo:[0,0,1] neg_hi:[0,0,1]
	v_mov_b32_e32 v19, v3
	v_pk_mul_f32 v[2:3], v[54:55], v[22:23]
	v_pk_add_f32 v[14:15], v[38:39], v[14:15] neg_lo:[0,1] neg_hi:[0,1]
	v_pk_fma_f32 v[20:21], v[88:89], v[22:23], v[2:3] op_sel:[0,0,1] op_sel_hi:[1,1,0]
	v_pk_fma_f32 v[2:3], v[88:89], v[22:23], v[2:3] op_sel:[0,0,1] op_sel_hi:[1,1,0] neg_lo:[0,0,1] neg_hi:[0,0,1]
	v_pk_add_f32 v[18:19], v[28:29], v[18:19] neg_lo:[0,1] neg_hi:[0,1]
	v_mov_b32_e32 v21, v3
	v_pk_mul_f32 v[2:3], v[114:115], v[24:25] op_sel_hi:[0,1]
	v_pk_fma_f32 v[22:23], v[48:49], v[24:25], v[2:3] op_sel:[0,0,1] op_sel_hi:[1,1,0]
	v_pk_fma_f32 v[2:3], v[48:49], v[24:25], v[2:3] op_sel:[0,0,1] op_sel_hi:[0,1,0] neg_lo:[0,0,1] neg_hi:[0,0,1]
	v_mov_b32_e32 v23, v3
	v_pk_mul_f32 v[2:3], v[118:119], v[26:27] op_sel_hi:[0,1]
	v_pk_fma_f32 v[24:25], v[50:51], v[26:27], v[2:3] op_sel:[0,0,1] op_sel_hi:[1,1,0]
	v_pk_fma_f32 v[2:3], v[50:51], v[26:27], v[2:3] op_sel:[0,0,1] op_sel_hi:[0,1,0] neg_lo:[0,0,1] neg_hi:[0,0,1]
	v_mov_b32_e32 v25, v3
	s_waitcnt lgkmcnt(0)
	v_pk_mul_f32 v[2:3], v[238:239], v[30:31] op_sel:[1,0]
	v_pk_add_f32 v[24:25], v[8:9], v[24:25] neg_lo:[0,1] neg_hi:[0,1]
	v_pk_fma_f32 v[26:27], v[238:239], v[30:31], v[2:3] op_sel:[0,0,1] op_sel_hi:[1,1,0]
	v_pk_fma_f32 v[2:3], v[238:239], v[30:31], v[2:3] op_sel:[0,0,1] op_sel_hi:[0,1,0] neg_lo:[0,0,1] neg_hi:[0,0,1]
	v_mov_b32_e32 v27, v3
	v_pk_add_f32 v[2:3], v[0:1], v[12:13] neg_lo:[0,1] neg_hi:[0,1]
	v_pk_add_f32 v[12:13], v[4:5], v[20:21] neg_lo:[0,1] neg_hi:[0,1]
	;; [unrolled: 1-line block ×4, first 2 shown]
	v_pk_fma_f32 v[0:1], v[0:1], 2.0, v[2:3] op_sel_hi:[1,0,1] neg_lo:[0,0,1] neg_hi:[0,0,1]
	v_pk_fma_f32 v[4:5], v[4:5], 2.0, v[12:13] op_sel_hi:[1,0,1] neg_lo:[0,0,1] neg_hi:[0,0,1]
	;; [unrolled: 1-line block ×8, first 2 shown]
	v_pk_add_f32 v[4:5], v[0:1], v[4:5] neg_lo:[0,1] neg_hi:[0,1]
	v_pk_add_f32 v[8:9], v[20:21], v[8:9] neg_lo:[0,1] neg_hi:[0,1]
	;; [unrolled: 1-line block ×4, first 2 shown]
	v_pk_fma_f32 v[0:1], v[0:1], 2.0, v[4:5] op_sel_hi:[1,0,1] neg_lo:[0,0,1] neg_hi:[0,0,1]
	v_pk_fma_f32 v[20:21], v[20:21], 2.0, v[8:9] op_sel_hi:[1,0,1] neg_lo:[0,0,1] neg_hi:[0,0,1]
	;; [unrolled: 1-line block ×4, first 2 shown]
	v_pk_add_f32 v[20:21], v[0:1], v[20:21] neg_lo:[0,1] neg_hi:[0,1]
	v_pk_add_f32 v[28:29], v[30:31], v[28:29] neg_lo:[0,1] neg_hi:[0,1]
	v_pk_fma_f32 v[0:1], v[0:1], 2.0, v[20:21] op_sel_hi:[1,0,1] neg_lo:[0,0,1] neg_hi:[0,0,1]
	v_pk_fma_f32 v[30:31], v[30:31], 2.0, v[28:29] op_sel_hi:[1,0,1] neg_lo:[0,0,1] neg_hi:[0,0,1]
	s_nop 0
	v_pk_add_f32 v[30:31], v[0:1], v[30:31] neg_lo:[0,1] neg_hi:[0,1]
	s_nop 0
	v_pk_fma_f32 v[0:1], v[0:1], 2.0, v[30:31] op_sel_hi:[1,0,1] neg_lo:[0,0,1] neg_hi:[0,0,1]
	ds_write_b64 v96, v[0:1]
	v_pk_add_f32 v[0:1], v[2:3], v[12:13] op_sel:[0,1] op_sel_hi:[1,0]
	v_pk_add_f32 v[12:13], v[2:3], v[12:13] op_sel:[0,1] op_sel_hi:[1,0] neg_lo:[0,1] neg_hi:[0,1]
	s_nop 0
	v_mov_b32_e32 v1, v13
	v_pk_add_f32 v[12:13], v[16:17], v[24:25] op_sel:[0,1] op_sel_hi:[1,0]
	v_pk_add_f32 v[24:25], v[16:17], v[24:25] op_sel:[0,1] op_sel_hi:[1,0] neg_lo:[0,1] neg_hi:[0,1]
	v_pk_fma_f32 v[2:3], v[2:3], 2.0, v[0:1] op_sel_hi:[1,0,1] neg_lo:[0,0,1] neg_hi:[0,0,1]
	v_mov_b32_e32 v13, v25
	v_pk_add_f32 v[24:25], v[14:15], v[22:23] op_sel:[0,1] op_sel_hi:[1,0]
	v_pk_add_f32 v[22:23], v[14:15], v[22:23] op_sel:[0,1] op_sel_hi:[1,0] neg_lo:[0,1] neg_hi:[0,1]
	v_pk_fma_f32 v[16:17], v[16:17], 2.0, v[12:13] op_sel_hi:[1,0,1] neg_lo:[0,0,1] neg_hi:[0,0,1]
	;; [unrolled: 4-line block ×3, first 2 shown]
	v_mov_b32_e32 v23, v27
	v_pk_fma_f32 v[18:19], v[18:19], 2.0, v[22:23] op_sel_hi:[1,0,1] neg_lo:[0,0,1] neg_hi:[0,0,1]
	v_pk_mul_f32 v[26:27], v[16:17], s[0:1] op_sel_hi:[1,0]
	v_pk_fma_f32 v[16:17], v[16:17], s[0:1], v[2:3] op_sel_hi:[1,0,1] neg_lo:[1,0,0] neg_hi:[1,0,0]
	s_nop 0
	v_pk_add_f32 v[32:33], v[16:17], v[26:27] op_sel:[0,1] op_sel_hi:[1,0]
	v_pk_add_f32 v[16:17], v[16:17], v[26:27] op_sel:[0,1] op_sel_hi:[1,0] neg_lo:[0,1] neg_hi:[0,1]
	v_pk_mul_f32 v[26:27], v[18:19], s[0:1] op_sel_hi:[1,0]
	v_pk_fma_f32 v[18:19], v[18:19], s[0:1], v[14:15] op_sel_hi:[1,0,1] neg_lo:[1,0,0] neg_hi:[1,0,0]
	v_mov_b32_e32 v33, v17
	v_pk_add_f32 v[34:35], v[18:19], v[26:27] op_sel:[0,1] op_sel_hi:[1,0]
	v_pk_add_f32 v[18:19], v[18:19], v[26:27] op_sel:[0,1] op_sel_hi:[1,0] neg_lo:[0,1] neg_hi:[0,1]
	v_pk_fma_f32 v[2:3], v[2:3], 2.0, v[32:33] op_sel_hi:[1,0,1] neg_lo:[0,0,1] neg_hi:[0,0,1]
	v_mov_b32_e32 v35, v19
	v_pk_fma_f32 v[14:15], v[14:15], 2.0, v[34:35] op_sel_hi:[1,0,1] neg_lo:[0,0,1] neg_hi:[0,0,1]
	s_nop 0
	v_pk_fma_f32 v[26:27], v[14:15], s[10:11], v[2:3] op_sel_hi:[1,0,1] neg_lo:[1,0,0] neg_hi:[1,0,0]
	v_pk_mul_f32 v[14:15], v[14:15], s[14:15] op_sel_hi:[1,0]
	s_nop 0
	v_pk_add_f32 v[36:37], v[26:27], v[14:15] op_sel:[0,1] op_sel_hi:[1,0]
	v_pk_add_f32 v[14:15], v[26:27], v[14:15] op_sel:[0,1] op_sel_hi:[1,0] neg_lo:[0,1] neg_hi:[0,1]
	s_nop 0
	v_fmamk_f32 v14, v34, 0x3ec3ef15, v32
	v_mov_b32_e32 v37, v15
	v_fmamk_f32 v15, v19, 0x3ec3ef15, v17
	v_fmac_f32_e32 v14, 0x3f6c835e, v19
	v_pk_add_f32 v[18:19], v[4:5], v[8:9] op_sel:[0,1] op_sel_hi:[1,0]
	v_pk_add_f32 v[8:9], v[4:5], v[8:9] op_sel:[0,1] op_sel_hi:[1,0] neg_lo:[0,1] neg_hi:[0,1]
	v_pk_fma_f32 v[2:3], v[2:3], 2.0, v[36:37] op_sel_hi:[1,0,1] neg_lo:[0,0,1] neg_hi:[0,0,1]
	v_mov_b32_e32 v19, v9
	v_pk_add_f32 v[8:9], v[6:7], v[10:11] op_sel:[0,1] op_sel_hi:[1,0]
	v_pk_add_f32 v[10:11], v[6:7], v[10:11] op_sel:[0,1] op_sel_hi:[1,0] neg_lo:[0,1] neg_hi:[0,1]
	v_pk_fma_f32 v[4:5], v[4:5], 2.0, v[18:19] op_sel_hi:[1,0,1] neg_lo:[0,0,1] neg_hi:[0,0,1]
	v_mov_b32_e32 v9, v11
	v_pk_fma_f32 v[6:7], v[6:7], 2.0, v[8:9] op_sel_hi:[1,0,1] neg_lo:[0,0,1] neg_hi:[0,0,1]
	v_fmamk_f32 v15, v34, 0xbf6c835e, v15
	v_pk_mul_f32 v[10:11], v[6:7], s[0:1] op_sel_hi:[1,0]
	v_pk_fma_f32 v[6:7], v[6:7], s[0:1], v[4:5] op_sel_hi:[1,0,1] neg_lo:[1,0,0] neg_hi:[1,0,0]
	v_fma_f32 v16, v32, 2.0, -v14
	v_pk_add_f32 v[26:27], v[6:7], v[10:11] op_sel:[0,1] op_sel_hi:[1,0]
	v_pk_add_f32 v[6:7], v[6:7], v[10:11] op_sel:[0,1] op_sel_hi:[1,0] neg_lo:[0,1] neg_hi:[0,1]
	v_pk_fma_f32 v[10:11], v[22:23], s[0:1], v[24:25] op_sel_hi:[1,0,1]
	v_mov_b32_e32 v27, v7
	v_pk_fma_f32 v[4:5], v[4:5], 2.0, v[26:27] op_sel_hi:[1,0,1] neg_lo:[0,0,1] neg_hi:[0,0,1]
	ds_write2_b64 v96, v[2:3], v[4:5] offset0:85 offset1:170
	v_pk_mul_f32 v[2:3], v[12:13], s[0:1] op_sel_hi:[1,0]
	v_pk_fma_f32 v[4:5], v[12:13], s[0:1], v[0:1] op_sel_hi:[1,0,1]
	v_fma_f32 v17, v17, 2.0, -v15
	v_pk_add_f32 v[6:7], v[4:5], v[2:3] op_sel:[0,1] op_sel_hi:[1,0]
	v_pk_add_f32 v[2:3], v[4:5], v[2:3] op_sel:[0,1] op_sel_hi:[1,0] neg_lo:[0,1] neg_hi:[0,1]
	v_pk_mul_f32 v[4:5], v[22:23], s[0:1] op_sel_hi:[1,0]
	v_mov_b32_e32 v7, v3
	v_pk_add_f32 v[12:13], v[10:11], v[4:5] op_sel:[0,1] op_sel_hi:[1,0]
	v_pk_add_f32 v[4:5], v[10:11], v[4:5] op_sel:[0,1] op_sel_hi:[1,0] neg_lo:[0,1] neg_hi:[0,1]
	v_pk_fma_f32 v[0:1], v[0:1], 2.0, v[6:7] op_sel_hi:[1,0,1] neg_lo:[0,0,1] neg_hi:[0,0,1]
	v_mov_b32_e32 v13, v5
	v_pk_fma_f32 v[10:11], v[24:25], 2.0, v[12:13] op_sel_hi:[1,0,1] neg_lo:[0,0,1] neg_hi:[0,0,1]
	v_fmamk_f32 v2, v5, 0x3f6c835e, v3
	v_pk_fma_f32 v[22:23], v[10:11], s[14:15], v[0:1] op_sel_hi:[1,0,1] neg_lo:[1,0,0] neg_hi:[1,0,0]
	v_pk_mul_f32 v[10:11], v[10:11], s[10:11] op_sel_hi:[1,0]
	v_add_u32_e32 v7, 0x400, v96
	v_pk_add_f32 v[24:25], v[22:23], v[10:11] op_sel:[0,1] op_sel_hi:[1,0]
	v_pk_add_f32 v[10:11], v[22:23], v[10:11] op_sel:[0,1] op_sel_hi:[1,0] neg_lo:[0,1] neg_hi:[0,1]
	s_nop 0
	v_fmamk_f32 v10, v12, 0x3f6c835e, v6
	v_mov_b32_e32 v25, v11
	v_fmac_f32_e32 v10, 0x3ec3ef15, v5
	v_fmamk_f32 v11, v12, 0xbec3ef15, v2
	v_pk_add_f32 v[12:13], v[20:21], v[28:29] op_sel:[0,1] op_sel_hi:[1,0]
	v_pk_add_f32 v[4:5], v[20:21], v[28:29] op_sel:[0,1] op_sel_hi:[1,0] neg_lo:[0,1] neg_hi:[0,1]
	v_pk_fma_f32 v[0:1], v[0:1], 2.0, v[24:25] op_sel_hi:[1,0,1] neg_lo:[0,0,1] neg_hi:[0,0,1]
	v_mov_b32_e32 v13, v5
	v_pk_fma_f32 v[4:5], v[20:21], 2.0, v[12:13] op_sel_hi:[1,0,1] neg_lo:[0,0,1] neg_hi:[0,0,1]
	ds_write2_b64 v7, v[0:1], v[4:5] offset0:127 offset1:212
	v_pk_mul_f32 v[0:1], v[8:9], s[0:1] op_sel_hi:[1,0]
	v_pk_fma_f32 v[4:5], v[8:9], s[0:1], v[18:19] op_sel_hi:[1,0,1]
	v_fma_f32 v2, v6, 2.0, -v10
	v_pk_add_f32 v[8:9], v[4:5], v[0:1] op_sel:[0,1] op_sel_hi:[1,0]
	v_pk_add_f32 v[0:1], v[4:5], v[0:1] op_sel:[0,1] op_sel_hi:[1,0] neg_lo:[0,1] neg_hi:[0,1]
	v_fma_f32 v3, v3, 2.0, -v11
	v_mov_b32_e32 v9, v1
	v_add_u32_e32 v5, 0x1000, v96
	v_pk_fma_f32 v[0:1], v[18:19], 2.0, v[8:9] op_sel_hi:[1,0,1] neg_lo:[0,0,1] neg_hi:[0,0,1]
	v_add_u32_e32 v6, 0x800, v96
	ds_write2_b64 v5, v[2:3], v[30:31] offset0:83 offset1:168
	v_add_u32_e32 v4, 0x1400, v96
	v_add_u32_e32 v3, 0x1800, v96
	;; [unrolled: 1-line block ×3, first 2 shown]
	ds_write2_b64 v6, v[16:17], v[0:1] offset0:169 offset1:254
	ds_write2_b64 v4, v[36:37], v[26:27] offset0:125 offset1:210
	;; [unrolled: 1-line block ×4, first 2 shown]
	ds_write_b64 v96, v[10:11] offset:10200
	s_waitcnt lgkmcnt(0)
	s_barrier
	s_and_b64 exec, exec, vcc
	s_cbranch_execz .LBB0_23
; %bb.22:
	global_load_dwordx2 v[8:9], v232, s[8:9]
	ds_read_b64 v[12:13], v96
	v_mad_u64_u32 v[10:11], s[0:1], s6, v234, 0
	v_mov_b32_e32 v16, v11
	v_mad_u64_u32 v[16:17], s[6:7], s7, v234, v[16:17]
	v_mov_b32_e32 v0, s12
	v_mov_b32_e32 v1, s13
	;; [unrolled: 1-line block ×3, first 2 shown]
	v_mad_u64_u32 v[14:15], s[10:11], s4, v230, 0
	v_lshl_add_u64 v[0:1], v[10:11], 3, v[0:1]
	s_mov_b32 s0, 0x18181818
	v_mov_b32_e32 v18, v15
	s_mov_b32 s1, 0x3f481818
	v_mad_u64_u32 v[18:19], s[6:7], s5, v230, v[18:19]
	v_mov_b32_e32 v15, v18
	v_lshl_add_u64 v[14:15], v[14:15], 3, v[0:1]
	v_mov_b32_e32 v20, 0x280
	s_mul_i32 s6, s5, 0x280
	v_mov_b32_e32 v233, 0
	s_waitcnt vmcnt(0) lgkmcnt(0)
	v_mul_f32_e32 v10, v13, v9
	v_mul_f32_e32 v9, v12, v9
	v_fmac_f32_e32 v10, v12, v8
	v_fma_f32 v11, v8, v13, -v9
	v_cvt_f64_f32_e32 v[8:9], v10
	v_cvt_f64_f32_e32 v[10:11], v11
	v_mul_f64 v[8:9], v[8:9], s[0:1]
	v_mul_f64 v[10:11], v[10:11], s[0:1]
	v_cvt_f32_f64_e32 v8, v[8:9]
	v_cvt_f32_f64_e32 v9, v[10:11]
	global_store_dwordx2 v[14:15], v[8:9], off
	global_load_dwordx2 v[12:13], v232, s[8:9] offset:640
	ds_read2_b64 v[8:11], v96 offset0:80 offset1:160
	v_mad_u64_u32 v[14:15], s[10:11], s4, v20, v[14:15]
	v_add_u32_e32 v15, s6, v15
	s_waitcnt vmcnt(0) lgkmcnt(0)
	v_mul_f32_e32 v16, v9, v13
	v_mul_f32_e32 v13, v8, v13
	v_fmac_f32_e32 v16, v8, v12
	v_fma_f32 v12, v12, v9, -v13
	v_cvt_f64_f32_e32 v[8:9], v16
	v_cvt_f64_f32_e32 v[12:13], v12
	v_mul_f64 v[8:9], v[8:9], s[0:1]
	v_mul_f64 v[12:13], v[12:13], s[0:1]
	v_cvt_f32_f64_e32 v8, v[8:9]
	v_cvt_f32_f64_e32 v9, v[12:13]
	global_store_dwordx2 v[14:15], v[8:9], off
	global_load_dwordx2 v[8:9], v232, s[8:9] offset:1280
	v_mad_u64_u32 v[12:13], s[10:11], s4, v20, v[14:15]
	v_add_u32_e32 v13, s6, v13
	s_waitcnt vmcnt(0)
	v_mul_f32_e32 v14, v11, v9
	v_mul_f32_e32 v9, v10, v9
	v_fmac_f32_e32 v14, v10, v8
	v_fma_f32 v10, v8, v11, -v9
	v_cvt_f64_f32_e32 v[8:9], v14
	v_cvt_f64_f32_e32 v[10:11], v10
	v_mul_f64 v[8:9], v[8:9], s[0:1]
	v_mul_f64 v[10:11], v[10:11], s[0:1]
	v_cvt_f32_f64_e32 v8, v[8:9]
	v_cvt_f32_f64_e32 v9, v[10:11]
	global_store_dwordx2 v[12:13], v[8:9], off
	global_load_dwordx2 v[14:15], v232, s[8:9] offset:1920
	ds_read2_b64 v[8:11], v7 offset0:112 offset1:192
	v_mad_u64_u32 v[12:13], s[10:11], s4, v20, v[12:13]
	v_add_u32_e32 v13, s6, v13
	s_waitcnt vmcnt(0) lgkmcnt(0)
	v_mul_f32_e32 v7, v9, v15
	v_mul_f32_e32 v15, v8, v15
	v_fmac_f32_e32 v7, v8, v14
	v_fma_f32 v14, v14, v9, -v15
	v_cvt_f64_f32_e32 v[8:9], v7
	v_cvt_f64_f32_e32 v[14:15], v14
	v_mul_f64 v[8:9], v[8:9], s[0:1]
	v_mul_f64 v[14:15], v[14:15], s[0:1]
	v_cvt_f32_f64_e32 v8, v[8:9]
	v_cvt_f32_f64_e32 v9, v[14:15]
	global_store_dwordx2 v[12:13], v[8:9], off
	global_load_dwordx2 v[8:9], v232, s[8:9] offset:2560
	v_mad_u64_u32 v[12:13], s[10:11], s4, v20, v[12:13]
	v_add_u32_e32 v13, s6, v13
	s_waitcnt vmcnt(0)
	v_mul_f32_e32 v7, v11, v9
	v_mul_f32_e32 v9, v10, v9
	v_fmac_f32_e32 v7, v10, v8
	v_fma_f32 v10, v8, v11, -v9
	v_cvt_f64_f32_e32 v[8:9], v7
	v_cvt_f64_f32_e32 v[10:11], v10
	v_mul_f64 v[8:9], v[8:9], s[0:1]
	v_mul_f64 v[10:11], v[10:11], s[0:1]
	v_cvt_f32_f64_e32 v8, v[8:9]
	v_cvt_f32_f64_e32 v9, v[10:11]
	global_store_dwordx2 v[12:13], v[8:9], off
	global_load_dwordx2 v[10:11], v232, s[8:9] offset:3200
	ds_read2_b64 v[6:9], v6 offset0:144 offset1:224
	v_mad_u64_u32 v[12:13], s[10:11], s4, v20, v[12:13]
	v_add_u32_e32 v13, s6, v13
	s_waitcnt vmcnt(0) lgkmcnt(0)
	v_mul_f32_e32 v14, v7, v11
	v_mul_f32_e32 v11, v6, v11
	v_fmac_f32_e32 v14, v6, v10
	v_fma_f32 v10, v10, v7, -v11
	v_cvt_f64_f32_e32 v[6:7], v14
	v_cvt_f64_f32_e32 v[10:11], v10
	v_mul_f64 v[6:7], v[6:7], s[0:1]
	v_mul_f64 v[10:11], v[10:11], s[0:1]
	v_cvt_f32_f64_e32 v6, v[6:7]
	v_cvt_f32_f64_e32 v7, v[10:11]
	global_store_dwordx2 v[12:13], v[6:7], off
	global_load_dwordx2 v[6:7], v232, s[8:9] offset:3840
	v_lshl_add_u64 v[10:11], s[8:9], 0, v[232:233]
	v_mad_u64_u32 v[12:13], s[10:11], s4, v20, v[12:13]
	v_add_co_u32_e32 v14, vcc, s3, v10
	v_add_u32_e32 v13, s6, v13
	s_nop 0
	v_addc_co_u32_e32 v15, vcc, 0, v11, vcc
	s_mul_i32 s3, s5, 0x500
	v_add_co_u32_e32 v10, vcc, s2, v10
	s_waitcnt vmcnt(0)
	v_mul_f32_e32 v16, v9, v7
	v_mul_f32_e32 v7, v8, v7
	v_fmac_f32_e32 v16, v8, v6
	v_fma_f32 v8, v6, v9, -v7
	v_cvt_f64_f32_e32 v[6:7], v16
	v_cvt_f64_f32_e32 v[8:9], v8
	v_mul_f64 v[6:7], v[6:7], s[0:1]
	v_mul_f64 v[8:9], v[8:9], s[0:1]
	v_cvt_f32_f64_e32 v6, v[6:7]
	v_cvt_f32_f64_e32 v7, v[8:9]
	global_store_dwordx2 v[12:13], v[6:7], off
	global_load_dwordx2 v[16:17], v[14:15], off offset:384
	ds_read2_b64 v[6:9], v5 offset0:48 offset1:128
	v_mad_u64_u32 v[12:13], s[10:11], s4, v20, v[12:13]
	v_or_b32_e32 v5, 0x280, v230
	v_add_u32_e32 v13, s6, v13
	v_lshlrev_b32_e32 v18, 3, v5
	v_addc_co_u32_e32 v11, vcc, 0, v11, vcc
	s_waitcnt vmcnt(0) lgkmcnt(0)
	v_mul_f32_e32 v19, v7, v17
	v_mul_f32_e32 v17, v6, v17
	v_fmac_f32_e32 v19, v6, v16
	v_fma_f32 v16, v16, v7, -v17
	v_cvt_f64_f32_e32 v[6:7], v19
	v_cvt_f64_f32_e32 v[16:17], v16
	v_mul_f64 v[6:7], v[6:7], s[0:1]
	v_mul_f64 v[16:17], v[16:17], s[0:1]
	v_cvt_f32_f64_e32 v6, v[6:7]
	v_cvt_f32_f64_e32 v7, v[16:17]
	global_store_dwordx2 v[12:13], v[6:7], off
	global_load_dwordx2 v[6:7], v18, s[8:9]
	v_mad_u64_u32 v[16:17], s[10:11], s4, v5, 0
	v_mov_b32_e32 v18, v17
	v_mad_u64_u32 v[18:19], s[10:11], s5, v5, v[18:19]
	v_mov_b32_e32 v17, v18
	v_lshl_add_u64 v[16:17], v[16:17], 3, v[0:1]
	s_waitcnt vmcnt(0)
	v_mul_f32_e32 v5, v9, v7
	v_mul_f32_e32 v7, v8, v7
	v_fmac_f32_e32 v5, v8, v6
	v_fma_f32 v8, v6, v9, -v7
	v_cvt_f64_f32_e32 v[6:7], v5
	v_cvt_f64_f32_e32 v[8:9], v8
	v_mul_f64 v[6:7], v[6:7], s[0:1]
	v_mul_f64 v[8:9], v[8:9], s[0:1]
	v_cvt_f32_f64_e32 v6, v[6:7]
	v_cvt_f32_f64_e32 v7, v[8:9]
	global_store_dwordx2 v[16:17], v[6:7], off
	global_load_dwordx2 v[8:9], v[14:15], off offset:1664
	ds_read2_b64 v[4:7], v4 offset0:80 offset1:160
	v_mov_b32_e32 v16, 0x500
	v_mad_u64_u32 v[12:13], s[10:11], s4, v16, v[12:13]
	v_add_u32_e32 v13, s3, v13
	s_waitcnt vmcnt(0) lgkmcnt(0)
	v_mul_f32_e32 v16, v5, v9
	v_mul_f32_e32 v9, v4, v9
	v_fmac_f32_e32 v16, v4, v8
	v_fma_f32 v8, v8, v5, -v9
	v_cvt_f64_f32_e32 v[4:5], v16
	v_cvt_f64_f32_e32 v[8:9], v8
	v_mul_f64 v[4:5], v[4:5], s[0:1]
	v_mul_f64 v[8:9], v[8:9], s[0:1]
	v_cvt_f32_f64_e32 v4, v[4:5]
	v_cvt_f32_f64_e32 v5, v[8:9]
	global_store_dwordx2 v[12:13], v[4:5], off
	global_load_dwordx2 v[4:5], v[14:15], off offset:2304
	v_mad_u64_u32 v[8:9], s[10:11], s4, v20, v[12:13]
	v_add_u32_e32 v9, s6, v9
	s_waitcnt vmcnt(0)
	v_mul_f32_e32 v12, v7, v5
	v_mul_f32_e32 v5, v6, v5
	v_fmac_f32_e32 v12, v6, v4
	v_fma_f32 v6, v4, v7, -v5
	v_cvt_f64_f32_e32 v[4:5], v12
	v_cvt_f64_f32_e32 v[6:7], v6
	v_mul_f64 v[4:5], v[4:5], s[0:1]
	v_mul_f64 v[6:7], v[6:7], s[0:1]
	v_cvt_f32_f64_e32 v4, v[4:5]
	v_cvt_f32_f64_e32 v5, v[6:7]
	global_store_dwordx2 v[8:9], v[4:5], off
	global_load_dwordx2 v[12:13], v[14:15], off offset:2944
	ds_read2_b64 v[4:7], v3 offset0:112 offset1:192
	v_mad_u64_u32 v[8:9], s[10:11], s4, v20, v[8:9]
	v_add_u32_e32 v9, s6, v9
	s_waitcnt vmcnt(0) lgkmcnt(0)
	v_mul_f32_e32 v3, v5, v13
	v_mul_f32_e32 v13, v4, v13
	v_fmac_f32_e32 v3, v4, v12
	v_fma_f32 v12, v12, v5, -v13
	v_cvt_f64_f32_e32 v[4:5], v3
	v_cvt_f64_f32_e32 v[12:13], v12
	v_mul_f64 v[4:5], v[4:5], s[0:1]
	v_mul_f64 v[12:13], v[12:13], s[0:1]
	v_cvt_f32_f64_e32 v4, v[4:5]
	v_cvt_f32_f64_e32 v5, v[12:13]
	global_store_dwordx2 v[8:9], v[4:5], off
	global_load_dwordx2 v[4:5], v[14:15], off offset:3584
	v_mad_u64_u32 v[8:9], s[2:3], s4, v20, v[8:9]
	v_add_u32_e32 v9, s6, v9
	s_waitcnt vmcnt(0)
	v_mul_f32_e32 v3, v7, v5
	v_mul_f32_e32 v5, v6, v5
	v_fmac_f32_e32 v3, v6, v4
	v_fma_f32 v6, v4, v7, -v5
	v_cvt_f64_f32_e32 v[4:5], v3
	v_cvt_f64_f32_e32 v[6:7], v6
	v_mul_f64 v[4:5], v[4:5], s[0:1]
	v_mul_f64 v[6:7], v[6:7], s[0:1]
	v_cvt_f32_f64_e32 v4, v[4:5]
	v_cvt_f32_f64_e32 v5, v[6:7]
	global_store_dwordx2 v[8:9], v[4:5], off
	global_load_dwordx2 v[6:7], v[10:11], off offset:128
	ds_read2_b64 v[2:5], v2 offset0:16 offset1:96
	v_mad_u64_u32 v[8:9], s[2:3], s4, v20, v[8:9]
	v_add_u32_e32 v9, s6, v9
	s_waitcnt vmcnt(0) lgkmcnt(0)
	v_mul_f32_e32 v12, v3, v7
	v_mul_f32_e32 v7, v2, v7
	v_fmac_f32_e32 v12, v2, v6
	v_fma_f32 v6, v6, v3, -v7
	v_cvt_f64_f32_e32 v[2:3], v12
	v_cvt_f64_f32_e32 v[6:7], v6
	v_mul_f64 v[2:3], v[2:3], s[0:1]
	v_mul_f64 v[6:7], v[6:7], s[0:1]
	v_cvt_f32_f64_e32 v2, v[2:3]
	v_cvt_f32_f64_e32 v3, v[6:7]
	global_store_dwordx2 v[8:9], v[2:3], off
	global_load_dwordx2 v[2:3], v[10:11], off offset:768
	v_mad_u64_u32 v[6:7], s[2:3], s4, v20, v[8:9]
	v_add_u32_e32 v7, s6, v7
	s_waitcnt vmcnt(0)
	v_mul_f32_e32 v8, v5, v3
	v_mul_f32_e32 v3, v4, v3
	v_fmac_f32_e32 v8, v4, v2
	v_fma_f32 v4, v2, v5, -v3
	v_cvt_f64_f32_e32 v[2:3], v8
	v_cvt_f64_f32_e32 v[4:5], v4
	v_mul_f64 v[2:3], v[2:3], s[0:1]
	v_mul_f64 v[4:5], v[4:5], s[0:1]
	v_cvt_f32_f64_e32 v2, v[2:3]
	v_cvt_f32_f64_e32 v3, v[4:5]
	global_store_dwordx2 v[6:7], v[2:3], off
	global_load_dwordx2 v[8:9], v[10:11], off offset:1408
	v_add_u32_e32 v2, 0x2400, v96
	ds_read2_b64 v[2:5], v2 offset0:48 offset1:128
	v_mad_u64_u32 v[6:7], s[2:3], s4, v20, v[6:7]
	v_or_b32_e32 v10, 0x500, v230
	v_add_u32_e32 v7, s6, v7
	v_lshlrev_b32_e32 v11, 3, v10
	s_waitcnt vmcnt(0) lgkmcnt(0)
	v_mul_f32_e32 v12, v3, v9
	v_mul_f32_e32 v9, v2, v9
	v_fmac_f32_e32 v12, v2, v8
	v_fma_f32 v8, v8, v3, -v9
	v_cvt_f64_f32_e32 v[2:3], v12
	v_cvt_f64_f32_e32 v[8:9], v8
	v_mul_f64 v[2:3], v[2:3], s[0:1]
	v_mul_f64 v[8:9], v[8:9], s[0:1]
	v_cvt_f32_f64_e32 v2, v[2:3]
	v_cvt_f32_f64_e32 v3, v[8:9]
	global_store_dwordx2 v[6:7], v[2:3], off
	global_load_dwordx2 v[2:3], v11, s[8:9]
	v_mad_u64_u32 v[6:7], s[2:3], s4, v10, 0
	v_mov_b32_e32 v8, v7
	v_mad_u64_u32 v[8:9], s[2:3], s5, v10, v[8:9]
	v_mov_b32_e32 v7, v8
	v_lshl_add_u64 v[0:1], v[6:7], 3, v[0:1]
	s_waitcnt vmcnt(0)
	v_mul_f32_e32 v8, v5, v3
	v_mul_f32_e32 v3, v4, v3
	v_fmac_f32_e32 v8, v4, v2
	v_fma_f32 v4, v2, v5, -v3
	v_cvt_f64_f32_e32 v[2:3], v8
	v_cvt_f64_f32_e32 v[4:5], v4
	v_mul_f64 v[2:3], v[2:3], s[0:1]
	v_mul_f64 v[4:5], v[4:5], s[0:1]
	v_cvt_f32_f64_e32 v2, v[2:3]
	v_cvt_f32_f64_e32 v3, v[4:5]
	global_store_dwordx2 v[0:1], v[2:3], off
.LBB0_23:
	s_endpgm
	.section	.rodata,"a",@progbits
	.p2align	6, 0x0
	.amdhsa_kernel bluestein_single_fwd_len1360_dim1_sp_op_CI_CI
		.amdhsa_group_segment_fixed_size 32640
		.amdhsa_private_segment_fixed_size 0
		.amdhsa_kernarg_size 104
		.amdhsa_user_sgpr_count 2
		.amdhsa_user_sgpr_dispatch_ptr 0
		.amdhsa_user_sgpr_queue_ptr 0
		.amdhsa_user_sgpr_kernarg_segment_ptr 1
		.amdhsa_user_sgpr_dispatch_id 0
		.amdhsa_user_sgpr_kernarg_preload_length 0
		.amdhsa_user_sgpr_kernarg_preload_offset 0
		.amdhsa_user_sgpr_private_segment_size 0
		.amdhsa_uses_dynamic_stack 0
		.amdhsa_enable_private_segment 0
		.amdhsa_system_sgpr_workgroup_id_x 1
		.amdhsa_system_sgpr_workgroup_id_y 0
		.amdhsa_system_sgpr_workgroup_id_z 0
		.amdhsa_system_sgpr_workgroup_info 0
		.amdhsa_system_vgpr_workitem_id 0
		.amdhsa_next_free_vgpr 306
		.amdhsa_next_free_sgpr 74
		.amdhsa_accum_offset 256
		.amdhsa_reserve_vcc 1
		.amdhsa_float_round_mode_32 0
		.amdhsa_float_round_mode_16_64 0
		.amdhsa_float_denorm_mode_32 3
		.amdhsa_float_denorm_mode_16_64 3
		.amdhsa_dx10_clamp 1
		.amdhsa_ieee_mode 1
		.amdhsa_fp16_overflow 0
		.amdhsa_tg_split 0
		.amdhsa_exception_fp_ieee_invalid_op 0
		.amdhsa_exception_fp_denorm_src 0
		.amdhsa_exception_fp_ieee_div_zero 0
		.amdhsa_exception_fp_ieee_overflow 0
		.amdhsa_exception_fp_ieee_underflow 0
		.amdhsa_exception_fp_ieee_inexact 0
		.amdhsa_exception_int_div_zero 0
	.end_amdhsa_kernel
	.text
.Lfunc_end0:
	.size	bluestein_single_fwd_len1360_dim1_sp_op_CI_CI, .Lfunc_end0-bluestein_single_fwd_len1360_dim1_sp_op_CI_CI
                                        ; -- End function
	.section	.AMDGPU.csdata,"",@progbits
; Kernel info:
; codeLenInByte = 21412
; NumSgprs: 80
; NumVgprs: 256
; NumAgprs: 50
; TotalNumVgprs: 306
; ScratchSize: 0
; MemoryBound: 0
; FloatMode: 240
; IeeeMode: 1
; LDSByteSize: 32640 bytes/workgroup (compile time only)
; SGPRBlocks: 9
; VGPRBlocks: 38
; NumSGPRsForWavesPerEU: 80
; NumVGPRsForWavesPerEU: 306
; AccumOffset: 256
; Occupancy: 1
; WaveLimiterHint : 1
; COMPUTE_PGM_RSRC2:SCRATCH_EN: 0
; COMPUTE_PGM_RSRC2:USER_SGPR: 2
; COMPUTE_PGM_RSRC2:TRAP_HANDLER: 0
; COMPUTE_PGM_RSRC2:TGID_X_EN: 1
; COMPUTE_PGM_RSRC2:TGID_Y_EN: 0
; COMPUTE_PGM_RSRC2:TGID_Z_EN: 0
; COMPUTE_PGM_RSRC2:TIDIG_COMP_CNT: 0
; COMPUTE_PGM_RSRC3_GFX90A:ACCUM_OFFSET: 63
; COMPUTE_PGM_RSRC3_GFX90A:TG_SPLIT: 0
	.text
	.p2alignl 6, 3212836864
	.fill 256, 4, 3212836864
	.type	__hip_cuid_5d452c58190e6395,@object ; @__hip_cuid_5d452c58190e6395
	.section	.bss,"aw",@nobits
	.globl	__hip_cuid_5d452c58190e6395
__hip_cuid_5d452c58190e6395:
	.byte	0                               ; 0x0
	.size	__hip_cuid_5d452c58190e6395, 1

	.ident	"AMD clang version 19.0.0git (https://github.com/RadeonOpenCompute/llvm-project roc-6.4.0 25133 c7fe45cf4b819c5991fe208aaa96edf142730f1d)"
	.section	".note.GNU-stack","",@progbits
	.addrsig
	.addrsig_sym __hip_cuid_5d452c58190e6395
	.amdgpu_metadata
---
amdhsa.kernels:
  - .agpr_count:     50
    .args:
      - .actual_access:  read_only
        .address_space:  global
        .offset:         0
        .size:           8
        .value_kind:     global_buffer
      - .actual_access:  read_only
        .address_space:  global
        .offset:         8
        .size:           8
        .value_kind:     global_buffer
      - .actual_access:  read_only
        .address_space:  global
        .offset:         16
        .size:           8
        .value_kind:     global_buffer
      - .actual_access:  read_only
        .address_space:  global
        .offset:         24
        .size:           8
        .value_kind:     global_buffer
      - .actual_access:  read_only
        .address_space:  global
        .offset:         32
        .size:           8
        .value_kind:     global_buffer
      - .offset:         40
        .size:           8
        .value_kind:     by_value
      - .address_space:  global
        .offset:         48
        .size:           8
        .value_kind:     global_buffer
      - .address_space:  global
        .offset:         56
        .size:           8
        .value_kind:     global_buffer
      - .address_space:  global
        .offset:         64
        .size:           8
        .value_kind:     global_buffer
      - .address_space:  global
        .offset:         72
        .size:           8
        .value_kind:     global_buffer
      - .offset:         80
        .size:           4
        .value_kind:     by_value
      - .address_space:  global
        .offset:         88
        .size:           8
        .value_kind:     global_buffer
      - .address_space:  global
        .offset:         96
        .size:           8
        .value_kind:     global_buffer
    .group_segment_fixed_size: 32640
    .kernarg_segment_align: 8
    .kernarg_segment_size: 104
    .language:       OpenCL C
    .language_version:
      - 2
      - 0
    .max_flat_workgroup_size: 255
    .name:           bluestein_single_fwd_len1360_dim1_sp_op_CI_CI
    .private_segment_fixed_size: 0
    .sgpr_count:     80
    .sgpr_spill_count: 0
    .symbol:         bluestein_single_fwd_len1360_dim1_sp_op_CI_CI.kd
    .uniform_work_group_size: 1
    .uses_dynamic_stack: false
    .vgpr_count:     306
    .vgpr_spill_count: 0
    .wavefront_size: 64
amdhsa.target:   amdgcn-amd-amdhsa--gfx950
amdhsa.version:
  - 1
  - 2
...

	.end_amdgpu_metadata
